;; amdgpu-corpus repo=ROCm/rocFFT kind=compiled arch=gfx950 opt=O3
	.text
	.amdgcn_target "amdgcn-amd-amdhsa--gfx950"
	.amdhsa_code_object_version 6
	.protected	fft_rtc_fwd_len1815_factors_11_3_5_11_wgs_165_tpt_165_sp_ip_CI_unitstride_sbrr_dirReg ; -- Begin function fft_rtc_fwd_len1815_factors_11_3_5_11_wgs_165_tpt_165_sp_ip_CI_unitstride_sbrr_dirReg
	.globl	fft_rtc_fwd_len1815_factors_11_3_5_11_wgs_165_tpt_165_sp_ip_CI_unitstride_sbrr_dirReg
	.p2align	8
	.type	fft_rtc_fwd_len1815_factors_11_3_5_11_wgs_165_tpt_165_sp_ip_CI_unitstride_sbrr_dirReg,@function
fft_rtc_fwd_len1815_factors_11_3_5_11_wgs_165_tpt_165_sp_ip_CI_unitstride_sbrr_dirReg: ; @fft_rtc_fwd_len1815_factors_11_3_5_11_wgs_165_tpt_165_sp_ip_CI_unitstride_sbrr_dirReg
; %bb.0:
	s_load_dwordx2 s[8:9], s[0:1], 0x50
	s_load_dwordx4 s[4:7], s[0:1], 0x0
	s_load_dwordx2 s[10:11], s[0:1], 0x18
	v_mul_u32_u24_e32 v1, 0x18e, v0
	v_add_u32_sdwa v6, s2, v1 dst_sel:DWORD dst_unused:UNUSED_PAD src0_sel:DWORD src1_sel:WORD_1
	v_mov_b32_e32 v4, 0
	s_waitcnt lgkmcnt(0)
	v_cmp_lt_u64_e64 s[2:3], s[6:7], 2
	v_mov_b32_e32 v7, v4
	s_and_b64 vcc, exec, s[2:3]
	v_mov_b64_e32 v[2:3], 0
	s_cbranch_vccnz .LBB0_8
; %bb.1:
	s_load_dwordx2 s[2:3], s[0:1], 0x10
	s_add_u32 s12, s10, 8
	s_addc_u32 s13, s11, 0
	s_mov_b64 s[14:15], 1
	v_mov_b64_e32 v[2:3], 0
	s_waitcnt lgkmcnt(0)
	s_add_u32 s16, s2, 8
	s_addc_u32 s17, s3, 0
.LBB0_2:                                ; =>This Inner Loop Header: Depth=1
	s_load_dwordx2 s[18:19], s[16:17], 0x0
                                        ; implicit-def: $vgpr8_vgpr9
	s_waitcnt lgkmcnt(0)
	v_or_b32_e32 v5, s19, v7
	v_cmp_ne_u64_e32 vcc, 0, v[4:5]
	s_and_saveexec_b64 s[2:3], vcc
	s_xor_b64 s[20:21], exec, s[2:3]
	s_cbranch_execz .LBB0_4
; %bb.3:                                ;   in Loop: Header=BB0_2 Depth=1
	v_cvt_f32_u32_e32 v1, s18
	v_cvt_f32_u32_e32 v5, s19
	s_sub_u32 s2, 0, s18
	s_subb_u32 s3, 0, s19
	v_fmac_f32_e32 v1, 0x4f800000, v5
	v_rcp_f32_e32 v1, v1
	s_nop 0
	v_mul_f32_e32 v1, 0x5f7ffffc, v1
	v_mul_f32_e32 v5, 0x2f800000, v1
	v_trunc_f32_e32 v5, v5
	v_fmac_f32_e32 v1, 0xcf800000, v5
	v_cvt_u32_f32_e32 v5, v5
	v_cvt_u32_f32_e32 v1, v1
	v_mul_lo_u32 v8, s2, v5
	v_mul_hi_u32 v10, s2, v1
	v_mul_lo_u32 v9, s3, v1
	v_add_u32_e32 v10, v10, v8
	v_mul_lo_u32 v12, s2, v1
	v_add_u32_e32 v13, v10, v9
	v_mul_hi_u32 v8, v1, v12
	v_mul_hi_u32 v11, v1, v13
	v_mul_lo_u32 v10, v1, v13
	v_mov_b32_e32 v9, v4
	v_lshl_add_u64 v[8:9], v[8:9], 0, v[10:11]
	v_mul_hi_u32 v11, v5, v12
	v_mul_lo_u32 v12, v5, v12
	v_add_co_u32_e32 v8, vcc, v8, v12
	v_mul_hi_u32 v10, v5, v13
	s_nop 0
	v_addc_co_u32_e32 v8, vcc, v9, v11, vcc
	v_mov_b32_e32 v9, v4
	s_nop 0
	v_addc_co_u32_e32 v11, vcc, 0, v10, vcc
	v_mul_lo_u32 v10, v5, v13
	v_lshl_add_u64 v[8:9], v[8:9], 0, v[10:11]
	v_add_co_u32_e32 v1, vcc, v1, v8
	v_mul_lo_u32 v10, s2, v1
	s_nop 0
	v_addc_co_u32_e32 v5, vcc, v5, v9, vcc
	v_mul_lo_u32 v8, s2, v5
	v_mul_hi_u32 v9, s2, v1
	v_add_u32_e32 v8, v9, v8
	v_mul_lo_u32 v9, s3, v1
	v_add_u32_e32 v12, v8, v9
	v_mul_hi_u32 v14, v5, v10
	v_mul_lo_u32 v15, v5, v10
	v_mul_hi_u32 v9, v1, v12
	v_mul_lo_u32 v8, v1, v12
	v_mul_hi_u32 v10, v1, v10
	v_mov_b32_e32 v11, v4
	v_lshl_add_u64 v[8:9], v[10:11], 0, v[8:9]
	v_add_co_u32_e32 v8, vcc, v8, v15
	v_mul_hi_u32 v13, v5, v12
	s_nop 0
	v_addc_co_u32_e32 v8, vcc, v9, v14, vcc
	v_mul_lo_u32 v10, v5, v12
	s_nop 0
	v_addc_co_u32_e32 v11, vcc, 0, v13, vcc
	v_mov_b32_e32 v9, v4
	v_lshl_add_u64 v[8:9], v[8:9], 0, v[10:11]
	v_add_co_u32_e32 v1, vcc, v1, v8
	v_mul_hi_u32 v10, v6, v1
	s_nop 0
	v_addc_co_u32_e32 v5, vcc, v5, v9, vcc
	v_mad_u64_u32 v[8:9], s[2:3], v6, v5, 0
	v_mov_b32_e32 v11, v4
	v_lshl_add_u64 v[8:9], v[10:11], 0, v[8:9]
	v_mad_u64_u32 v[12:13], s[2:3], v7, v1, 0
	v_add_co_u32_e32 v1, vcc, v8, v12
	v_mad_u64_u32 v[10:11], s[2:3], v7, v5, 0
	s_nop 0
	v_addc_co_u32_e32 v8, vcc, v9, v13, vcc
	v_mov_b32_e32 v9, v4
	s_nop 0
	v_addc_co_u32_e32 v11, vcc, 0, v11, vcc
	v_lshl_add_u64 v[8:9], v[8:9], 0, v[10:11]
	v_mul_lo_u32 v1, s19, v8
	v_mul_lo_u32 v5, s18, v9
	v_mad_u64_u32 v[10:11], s[2:3], s18, v8, 0
	v_add3_u32 v1, v11, v5, v1
	v_sub_u32_e32 v5, v7, v1
	v_mov_b32_e32 v11, s19
	v_sub_co_u32_e32 v14, vcc, v6, v10
	v_lshl_add_u64 v[12:13], v[8:9], 0, 1
	s_nop 0
	v_subb_co_u32_e64 v5, s[2:3], v5, v11, vcc
	v_subrev_co_u32_e64 v10, s[2:3], s18, v14
	v_subb_co_u32_e32 v1, vcc, v7, v1, vcc
	s_nop 0
	v_subbrev_co_u32_e64 v5, s[2:3], 0, v5, s[2:3]
	v_cmp_le_u32_e64 s[2:3], s19, v5
	v_cmp_le_u32_e32 vcc, s19, v1
	s_nop 0
	v_cndmask_b32_e64 v11, 0, -1, s[2:3]
	v_cmp_le_u32_e64 s[2:3], s18, v10
	s_nop 1
	v_cndmask_b32_e64 v10, 0, -1, s[2:3]
	v_cmp_eq_u32_e64 s[2:3], s19, v5
	s_nop 1
	v_cndmask_b32_e64 v5, v11, v10, s[2:3]
	v_lshl_add_u64 v[10:11], v[8:9], 0, 2
	v_cmp_ne_u32_e64 s[2:3], 0, v5
	s_nop 1
	v_cndmask_b32_e64 v5, v13, v11, s[2:3]
	v_cndmask_b32_e64 v11, 0, -1, vcc
	v_cmp_le_u32_e32 vcc, s18, v14
	s_nop 1
	v_cndmask_b32_e64 v13, 0, -1, vcc
	v_cmp_eq_u32_e32 vcc, s19, v1
	s_nop 1
	v_cndmask_b32_e32 v1, v11, v13, vcc
	v_cmp_ne_u32_e32 vcc, 0, v1
	v_cndmask_b32_e64 v1, v12, v10, s[2:3]
	s_nop 0
	v_cndmask_b32_e32 v9, v9, v5, vcc
	v_cndmask_b32_e32 v8, v8, v1, vcc
.LBB0_4:                                ;   in Loop: Header=BB0_2 Depth=1
	s_andn2_saveexec_b64 s[2:3], s[20:21]
	s_cbranch_execz .LBB0_6
; %bb.5:                                ;   in Loop: Header=BB0_2 Depth=1
	v_cvt_f32_u32_e32 v1, s18
	s_sub_i32 s20, 0, s18
	v_rcp_iflag_f32_e32 v1, v1
	s_nop 0
	v_mul_f32_e32 v1, 0x4f7ffffe, v1
	v_cvt_u32_f32_e32 v1, v1
	v_mul_lo_u32 v5, s20, v1
	v_mul_hi_u32 v5, v1, v5
	v_add_u32_e32 v1, v1, v5
	v_mul_hi_u32 v1, v6, v1
	v_mul_lo_u32 v5, v1, s18
	v_sub_u32_e32 v5, v6, v5
	v_add_u32_e32 v8, 1, v1
	v_subrev_u32_e32 v9, s18, v5
	v_cmp_le_u32_e32 vcc, s18, v5
	s_nop 1
	v_cndmask_b32_e32 v5, v5, v9, vcc
	v_cndmask_b32_e32 v1, v1, v8, vcc
	v_add_u32_e32 v8, 1, v1
	v_cmp_le_u32_e32 vcc, s18, v5
	v_mov_b32_e32 v9, v4
	s_nop 0
	v_cndmask_b32_e32 v8, v1, v8, vcc
.LBB0_6:                                ;   in Loop: Header=BB0_2 Depth=1
	s_or_b64 exec, exec, s[2:3]
	v_mad_u64_u32 v[10:11], s[2:3], v8, s18, 0
	s_load_dwordx2 s[2:3], s[12:13], 0x0
	v_mul_lo_u32 v1, v9, s18
	v_mul_lo_u32 v5, v8, s19
	v_add3_u32 v1, v11, v5, v1
	v_sub_co_u32_e32 v5, vcc, v6, v10
	s_add_u32 s14, s14, 1
	s_nop 0
	v_subb_co_u32_e32 v1, vcc, v7, v1, vcc
	s_addc_u32 s15, s15, 0
	s_waitcnt lgkmcnt(0)
	v_mul_lo_u32 v1, s2, v1
	v_mul_lo_u32 v6, s3, v5
	v_mad_u64_u32 v[2:3], s[2:3], s2, v5, v[2:3]
	s_add_u32 s12, s12, 8
	v_add3_u32 v3, v6, v3, v1
	s_addc_u32 s13, s13, 0
	v_mov_b64_e32 v[6:7], s[6:7]
	s_add_u32 s16, s16, 8
	v_cmp_ge_u64_e32 vcc, s[14:15], v[6:7]
	s_addc_u32 s17, s17, 0
	s_cbranch_vccnz .LBB0_9
; %bb.7:                                ;   in Loop: Header=BB0_2 Depth=1
	v_mov_b64_e32 v[6:7], v[8:9]
	s_branch .LBB0_2
.LBB0_8:
	v_mov_b64_e32 v[8:9], v[6:7]
.LBB0_9:
	s_lshl_b64 s[2:3], s[6:7], 3
	s_add_u32 s2, s10, s2
	s_addc_u32 s3, s11, s3
	s_load_dwordx2 s[6:7], s[2:3], 0x0
	s_load_dwordx2 s[10:11], s[0:1], 0x20
	s_mov_b32 s2, 0x18d3019
	v_mov_b64_e32 v[24:25], 0
                                        ; implicit-def: $vgpr34
                                        ; implicit-def: $vgpr40
                                        ; implicit-def: $vgpr32
                                        ; implicit-def: $vgpr30
                                        ; implicit-def: $vgpr42
                                        ; implicit-def: $vgpr46
                                        ; implicit-def: $vgpr28
                                        ; implicit-def: $vgpr36
                                        ; implicit-def: $vgpr38
                                        ; implicit-def: $vgpr44
	s_waitcnt lgkmcnt(0)
	v_mul_lo_u32 v1, s6, v9
	v_mul_lo_u32 v4, s7, v8
	v_mad_u64_u32 v[2:3], s[0:1], s6, v8, v[2:3]
	v_add3_u32 v3, v4, v3, v1
	v_mul_hi_u32 v1, v0, s2
	v_mul_u32_u24_e32 v1, 0xa5, v1
	v_sub_u32_e32 v20, v0, v1
	v_mov_b32_e32 v0, 0
	v_cmp_gt_u64_e64 s[0:1], s[10:11], v[8:9]
	v_lshl_add_u64 v[22:23], v[2:3], 3, s[8:9]
	v_mov_b32_e32 v1, v0
	s_and_saveexec_b64 s[2:3], s[0:1]
	s_cbranch_execz .LBB0_11
; %bb.10:
	v_mov_b32_e32 v21, 0
	v_lshl_add_u64 v[2:3], v[20:21], 3, v[22:23]
	v_add_co_u32_e32 v6, vcc, 0x1000, v2
	global_load_dwordx2 v[0:1], v[2:3], off
	global_load_dwordx2 v[4:5], v[2:3], off offset:2640
	global_load_dwordx2 v[28:29], v[2:3], off offset:3960
	v_addc_co_u32_e32 v7, vcc, 0, v3, vcc
	v_add_co_u32_e32 v8, vcc, 0x2000, v2
	v_mov_b64_e32 v[24:25], v[20:21]
	s_nop 0
	v_addc_co_u32_e32 v9, vcc, 0, v3, vcc
	global_load_dwordx2 v[10:11], v[6:7], off offset:1184
	global_load_dwordx2 v[32:33], v[6:7], off offset:2504
	;; [unrolled: 1-line block ×7, first 2 shown]
	v_add_co_u32_e32 v2, vcc, 0x3000, v2
	s_waitcnt vmcnt(8)
	v_mov_b32_e32 v43, v5
	v_addc_co_u32_e32 v3, vcc, 0, v3, vcc
	global_load_dwordx2 v[44:45], v[2:3], off offset:912
	s_waitcnt vmcnt(8)
	v_mov_b32_e32 v42, v29
	v_mov_b32_e32 v29, v4
	s_waitcnt vmcnt(6)
	v_mov_b32_e32 v34, v33
	v_mov_b32_e32 v35, v11
	;; [unrolled: 3-line block ×4, first 2 shown]
	s_waitcnt vmcnt(3)
	v_mov_b32_e32 v46, v37
	s_waitcnt vmcnt(2)
	v_mov_b32_e32 v47, v15
	v_mov_b32_e32 v37, v14
.LBB0_11:
	s_or_b64 exec, exec, s[2:3]
	s_waitcnt vmcnt(0)
	v_pk_add_f32 v[48:49], v[38:39], v[44:45] neg_lo:[0,1] neg_hi:[0,1]
	v_pk_add_f32 v[16:17], v[38:39], v[44:45]
	s_mov_b32 s2, 0xbf0a6770
	v_mov_b32_e32 v2, v49
	v_mov_b32_e32 v3, v16
	s_mov_b32 s3, 0x3f575c64
	v_pk_mul_f32 v[4:5], v[2:3], s[2:3]
	v_mov_b32_e32 v12, v43
	v_mov_b32_e32 v13, v29
	;; [unrolled: 1-line block ×4, first 2 shown]
	v_pk_add_f32 v[38:39], v[38:39], v[0:1]
	v_mov_b32_e32 v60, v29
	v_mov_b32_e32 v61, v43
	;; [unrolled: 1-line block ×3, first 2 shown]
	v_pk_add_f32 v[14:15], v[28:29], v[36:37]
	v_pk_add_f32 v[54:55], v[12:13], v[18:19]
	v_pk_add_f32 v[18:19], v[28:29], v[36:37] neg_lo:[0,1] neg_hi:[0,1]
	v_pk_add_f32 v[38:39], v[60:61], v[38:39]
	v_mov_b32_e32 v29, v42
	v_pk_fma_f32 v[50:51], v[2:3], s[2:3], v[6:7] neg_lo:[1,0,0] neg_hi:[1,0,0]
	v_mov_b32_e32 v4, v17
	v_mov_b32_e32 v5, v48
	s_mov_b32 s6, s3
	s_mov_b32 s7, s2
	v_mov_b32_e32 v7, v28
	v_pk_add_f32 v[28:29], v[28:29], v[38:39]
	v_mov_b32_e32 v38, v33
	v_mov_b32_e32 v39, v35
	v_pk_mul_f32 v[8:9], v[4:5], s[6:7]
	v_mov_b32_e32 v12, v46
	v_mov_b32_e32 v13, v36
	;; [unrolled: 1-line block ×3, first 2 shown]
	s_mov_b32 s10, 0xbe11bafb
	v_pk_add_f32 v[62:63], v[32:33], v[30:31]
	v_pk_add_f32 v[28:29], v[38:39], v[28:29]
	v_pk_add_f32 v[38:39], v[32:33], v[30:31] neg_lo:[0,1] neg_hi:[0,1]
	v_mov_b32_e32 v33, v34
	v_mov_b32_e32 v10, v9
	v_pk_add_f32 v[12:13], v[6:7], v[12:13] neg_lo:[0,1] neg_hi:[0,1]
	v_mov_b32_e32 v26, v35
	v_mov_b32_e32 v58, v41
	;; [unrolled: 1-line block ×4, first 2 shown]
	v_pk_add_f32 v[60:61], v[42:43], v[46:47]
	s_mov_b32 s11, 0xbf7d64f0
	v_pk_add_f32 v[28:29], v[32:33], v[28:29]
	v_mov_b32_e32 v32, v30
	v_mov_b32_e32 v33, v40
	v_pk_fma_f32 v[52:53], v[4:5], s[6:7], v[10:11]
	v_pk_add_f32 v[10:11], v[42:43], v[46:47] neg_lo:[0,1] neg_hi:[0,1]
	v_pk_add_f32 v[58:59], v[26:27], v[58:59]
	v_mov_b32_e32 v26, v40
	v_mov_b32_e32 v27, v30
	v_pk_add_f32 v[28:29], v[32:33], v[28:29]
	v_pk_add_f32 v[42:43], v[34:35], v[40:41] neg_lo:[0,1] neg_hi:[0,1]
	v_pk_add_f32 v[34:35], v[34:35], v[40:41]
	v_mov_b32_e32 v40, v31
	v_pk_mul_f32 v[30:31], v[60:61], s[10:11]
	v_pk_add_f32 v[26:27], v[6:7], v[26:27] neg_lo:[0,1] neg_hi:[0,1]
	v_mov_b32_e32 v7, v30
	v_pk_add_f32 v[28:29], v[40:41], v[28:29]
	v_mov_b32_e32 v30, v36
	v_mov_b32_e32 v31, v46
	v_pk_add_f32 v[28:29], v[30:31], v[28:29]
	v_mov_b32_e32 v46, v37
	s_mov_b32 s14, 0xbf75a155
	s_mov_b32 s8, 0x3ed4b147
	v_pk_add_f32 v[28:29], v[46:47], v[28:29]
	v_mov_b32_e32 v35, v27
	s_mov_b32 s15, 0xbe903f40
	v_mov_b32_e32 v55, v19
	s_mov_b32 s9, 0xbf68dda4
	s_mov_b32 s12, s10
	;; [unrolled: 1-line block ×4, first 2 shown]
	v_pk_add_f32 v[36:37], v[44:45], v[28:29]
	v_pk_mul_f32 v[44:45], v[34:35], s[14:15]
	v_pk_mul_f32 v[56:57], v[54:55], s[8:9]
	v_pk_mul_f32 v[40:41], v[14:15], s[12:13]
	s_mov_b32 s12, s11
	s_mov_b32 s13, s9
	;; [unrolled: 1-line block ×3, first 2 shown]
	v_mov_b32_e32 v45, v52
	v_mov_b32_e32 v9, v56
	;; [unrolled: 1-line block ×3, first 2 shown]
	v_pk_fma_f32 v[32:33], v[10:11], s[12:13], v[40:41] neg_lo:[1,0,0] neg_hi:[1,0,0]
	v_pk_mul_f32 v[28:29], v[58:59], s[18:19]
	v_mov_b32_e32 v51, v56
	v_mov_b32_e32 v56, v0
	v_pk_add_f32 v[46:47], v[44:45], v[0:1]
	v_pk_fma_f32 v[30:31], v[12:13], s[10:11], v[6:7]
	v_mov_b32_e32 v21, v28
	v_pk_add_f32 v[28:29], v[50:51], v[56:57]
	s_mov_b32 s16, s14
	s_mov_b32 s17, s18
	v_mov_b32_e32 v46, v33
	v_mov_b32_e32 v38, v58
	v_pk_add_f32 v[28:29], v[46:47], v[28:29]
	v_pk_mul_f32 v[46:47], v[62:63], s[16:17]
	s_mov_b32 s16, s15
	s_mov_b32 s17, s19
	v_mov_b32_e32 v33, v31
	v_pk_fma_f32 v[30:31], v[42:43], s[16:17], v[46:47] neg_lo:[1,0,0] neg_hi:[1,0,0]
	v_pk_add_f32 v[50:51], v[32:33], v[28:29]
	v_pk_fma_f32 v[28:29], v[42:43], s[16:17], v[46:47]
	v_mov_b32_e32 v47, v44
	v_pk_fma_f32 v[52:53], v[38:39], s[18:19], v[20:21]
	v_pk_fma_f32 v[46:47], v[34:35], s[14:15], v[46:47]
	v_mov_b32_e32 v52, v31
	v_mov_b32_e32 v46, v30
	s_movk_i32 s16, 0x58
	v_pk_add_f32 v[50:51], v[52:53], v[50:51]
	v_pk_fma_f32 v[30:31], v[38:39], s[18:19], v[20:21] neg_lo:[1,0,0] neg_hi:[1,0,0]
	v_mad_u32_u24 v21, v20, s16, 0
	v_pk_add_f32 v[46:47], v[46:47], v[50:51]
	ds_write2_b64 v21, v[36:37], v[46:47] offset1:1
	v_mov_b32_e32 v37, v17
	v_mov_b32_e32 v17, v48
	;; [unrolled: 1-line block ×3, first 2 shown]
	s_mov_b32 s20, s9
	s_mov_b32 s21, s8
	v_pk_mul_f32 v[50:51], v[16:17], s[8:9]
	v_mov_b32_e32 v18, v15
	v_mov_b32_e32 v26, v62
	v_pk_fma_f32 v[52:53], v[2:3], s[20:21], v[50:51] neg_lo:[1,0,0] neg_hi:[1,0,0]
	v_pk_fma_f32 v[48:49], v[36:37], s[20:21], v[50:51]
	v_mov_b32_e32 v38, v63
	v_mov_b32_e32 v30, v11
	;; [unrolled: 1-line block ×4, first 2 shown]
	s_mov_b32 s16, s19
	s_mov_b32 s17, s18
	v_pk_mul_f32 v[62:63], v[18:19], s[18:19]
	v_pk_fma_f32 v[32:33], v[54:55], s[8:9], v[8:9] neg_lo:[1,0,0] neg_hi:[1,0,0]
	v_mov_b32_e32 v53, v49
	v_pk_fma_f32 v[54:55], v[30:31], s[16:17], v[62:63] neg_lo:[1,0,0] neg_hi:[1,0,0]
	v_pk_fma_f32 v[64:65], v[46:47], s[16:17], v[62:63]
	s_mov_b32 s22, 0x3e903f40
	v_mov_b32_e32 v55, v65
	v_pk_add_f32 v[52:53], v[52:53], v[0:1]
	v_mov_b32_e32 v15, v13
	s_mov_b32 s28, s14
	s_mov_b32 s29, s22
	v_pk_add_f32 v[54:55], v[54:55], v[52:53]
	v_mov_b32_e32 v53, v60
	v_mov_b32_e32 v52, v10
	s_mov_b32 s23, s14
	v_pk_mul_f32 v[60:61], v[14:15], s[28:29]
	s_mov_b32 s24, 0x3f7d64f0
	v_pk_fma_f32 v[56:57], v[10:11], s[22:23], v[60:61] neg_lo:[1,0,0] neg_hi:[1,0,0]
	v_pk_fma_f32 v[66:67], v[52:53], s[22:23], v[60:61]
	s_mov_b32 s36, s10
	v_mov_b32_e32 v57, v67
	s_mov_b32 s37, s24
	v_pk_add_f32 v[56:57], v[56:57], v[54:55]
	v_mov_b32_e32 v55, v58
	v_mov_b32_e32 v54, v43
	s_mov_b32 s25, s10
	v_mov_b32_e32 v32, v43
	v_pk_mul_f32 v[58:59], v[38:39], s[36:37]
	s_mov_b32 s30, 0x3f0a6770
	v_pk_fma_f32 v[68:69], v[32:33], s[24:25], v[58:59] neg_lo:[1,0,0] neg_hi:[1,0,0]
	v_pk_fma_f32 v[70:71], v[54:55], s[24:25], v[58:59]
	s_mov_b32 s31, s3
	v_mov_b32_e32 v69, v71
	v_pk_add_f32 v[68:69], v[68:69], v[56:57]
	v_mov_b32_e32 v56, v42
	v_mov_b32_e32 v57, v34
	s_mov_b32 s34, s3
	s_mov_b32 s35, s30
	v_pk_mul_f32 v[72:73], v[56:57], s[30:31]
	s_mov_b32 s26, s11
	v_pk_fma_f32 v[74:75], v[26:27], s[34:35], v[72:73]
	v_pk_fma_f32 v[76:77], v[26:27], s[34:35], v[72:73] neg_lo:[0,0,1] neg_hi:[0,0,1]
	s_mov_b32 s27, s10
	v_mov_b32_e32 v77, v75
	v_pk_add_f32 v[68:69], v[76:77], v[68:69]
	v_pk_mul_f32 v[76:77], v[16:17], s[10:11]
	v_pk_mul_f32 v[82:83], v[18:19], s[28:29]
	v_pk_fma_f32 v[78:79], v[2:3], s[26:27], v[76:77] neg_lo:[1,0,0] neg_hi:[1,0,0]
	v_pk_fma_f32 v[80:81], v[36:37], s[26:27], v[76:77]
	v_pk_fma_f32 v[84:85], v[30:31], s[22:23], v[82:83] neg_lo:[1,0,0] neg_hi:[1,0,0]
	v_mov_b32_e32 v79, v81
	v_pk_fma_f32 v[86:87], v[46:47], s[22:23], v[82:83]
	s_mov_b32 s28, 0x3f68dda4
	v_mov_b32_e32 v85, v87
	v_pk_add_f32 v[78:79], v[78:79], v[0:1]
	s_mov_b32 s9, s28
	v_pk_add_f32 v[78:79], v[84:85], v[78:79]
	s_mov_b32 s29, s8
	v_pk_mul_f32 v[84:85], v[14:15], s[8:9]
	v_pk_mul_f32 v[100:101], v[18:19], s[36:37]
	v_pk_fma_f32 v[88:89], v[10:11], s[28:29], v[84:85] neg_lo:[1,0,0] neg_hi:[1,0,0]
	v_pk_fma_f32 v[90:91], v[52:53], s[28:29], v[84:85]
	v_pk_fma_f32 v[102:103], v[30:31], s[24:25], v[100:101] neg_lo:[1,0,0] neg_hi:[1,0,0]
	v_mov_b32_e32 v89, v91
	v_pk_add_f32 v[78:79], v[88:89], v[78:79]
	v_pk_mul_f32 v[88:89], v[38:39], s[6:7]
	v_pk_fma_f32 v[104:105], v[46:47], s[24:25], v[100:101]
	v_pk_fma_f32 v[92:93], v[32:33], s[2:3], v[88:89] neg_lo:[1,0,0] neg_hi:[1,0,0]
	v_pk_fma_f32 v[94:95], v[54:55], s[2:3], v[88:89]
	v_mov_b32_e32 v103, v105
	v_mov_b32_e32 v93, v95
	v_pk_add_f32 v[78:79], v[92:93], v[78:79]
	v_pk_mul_f32 v[92:93], v[26:27], s[18:19]
	s_mov_b32 s36, s15
	v_pk_fma_f32 v[96:97], v[42:43], s[16:17], v[92:93] neg_lo:[1,0,0] neg_hi:[1,0,0]
	v_pk_fma_f32 v[98:99], v[56:57], s[16:17], v[92:93]
	s_mov_b32 s37, s14
	v_mov_b32_e32 v97, v99
	v_pk_add_f32 v[78:79], v[96:97], v[78:79]
	ds_write2_b64 v21, v[68:69], v[78:79] offset0:2 offset1:3
	v_pk_mul_f32 v[68:69], v[16:17], s[18:19]
	v_pk_mul_f32 v[16:17], v[16:17], s[14:15]
	v_pk_fma_f32 v[78:79], v[2:3], s[16:17], v[68:69] neg_lo:[1,0,0] neg_hi:[1,0,0]
	v_pk_fma_f32 v[96:97], v[36:37], s[16:17], v[68:69]
	v_pk_fma_f32 v[118:119], v[36:37], s[36:37], v[16:17]
	v_mov_b32_e32 v79, v97
	v_pk_add_f32 v[78:79], v[78:79], v[0:1]
	v_pk_mul_f32 v[18:19], v[18:19], s[34:35]
	v_pk_add_f32 v[78:79], v[102:103], v[78:79]
	v_pk_mul_f32 v[102:103], v[14:15], s[6:7]
	v_pk_fma_f32 v[120:121], v[30:31], s[30:31], v[18:19] neg_lo:[1,0,0] neg_hi:[1,0,0]
	v_pk_fma_f32 v[106:107], v[10:11], s[2:3], v[102:103] neg_lo:[1,0,0] neg_hi:[1,0,0]
	v_pk_fma_f32 v[108:109], v[52:53], s[2:3], v[102:103]
	v_pk_fma_f32 v[122:123], v[46:47], s[30:31], v[18:19]
	v_mov_b32_e32 v107, v109
	v_pk_add_f32 v[78:79], v[106:107], v[78:79]
	v_pk_mul_f32 v[106:107], v[38:39], s[14:15]
	v_mov_b32_e32 v121, v123
	v_pk_fma_f32 v[110:111], v[32:33], s[36:37], v[106:107] neg_lo:[1,0,0] neg_hi:[1,0,0]
	v_pk_fma_f32 v[112:113], v[54:55], s[36:37], v[106:107]
	v_pk_mul_f32 v[14:15], v[14:15], s[18:19]
	v_mov_b32_e32 v111, v113
	v_pk_add_f32 v[78:79], v[110:111], v[78:79]
	v_pk_mul_f32 v[110:111], v[26:27], s[8:9]
	v_pk_fma_f32 v[124:125], v[52:53], s[16:17], v[14:15]
	v_pk_fma_f32 v[114:115], v[42:43], s[28:29], v[110:111] neg_lo:[1,0,0] neg_hi:[1,0,0]
	v_pk_fma_f32 v[116:117], v[56:57], s[28:29], v[110:111]
	v_pk_mul_f32 v[38:39], v[38:39], s[8:9]
	v_mov_b32_e32 v115, v117
	v_pk_add_f32 v[78:79], v[114:115], v[78:79]
	v_pk_fma_f32 v[114:115], v[2:3], s[36:37], v[16:17] neg_lo:[1,0,0] neg_hi:[1,0,0]
	v_pk_fma_f32 v[16:17], v[36:37], s[36:37], v[16:17] neg_lo:[0,0,1] neg_hi:[0,0,1]
	v_mov_b32_e32 v115, v119
	v_pk_add_f32 v[114:115], v[114:115], v[0:1]
	v_mov_b32_e32 v119, v17
	v_pk_add_f32 v[114:115], v[120:121], v[114:115]
	v_pk_fma_f32 v[120:121], v[10:11], s[16:17], v[14:15] neg_lo:[1,0,0] neg_hi:[1,0,0]
	v_pk_fma_f32 v[16:17], v[46:47], s[30:31], v[18:19] neg_lo:[0,0,1] neg_hi:[0,0,1]
	v_mov_b32_e32 v121, v125
	v_mov_b32_e32 v123, v17
	v_pk_fma_f32 v[16:17], v[36:37], s[16:17], v[68:69] neg_lo:[0,0,1] neg_hi:[0,0,1]
	v_pk_add_f32 v[114:115], v[120:121], v[114:115]
	v_pk_fma_f32 v[120:121], v[32:33], s[28:29], v[38:39] neg_lo:[1,0,0] neg_hi:[1,0,0]
	v_pk_fma_f32 v[126:127], v[54:55], s[28:29], v[38:39]
	v_mov_b32_e32 v97, v17
	v_pk_fma_f32 v[16:17], v[46:47], s[24:25], v[100:101] neg_lo:[0,0,1] neg_hi:[0,0,1]
	v_mov_b32_e32 v121, v127
	v_pk_fma_f32 v[14:15], v[52:53], s[16:17], v[14:15] neg_lo:[0,0,1] neg_hi:[0,0,1]
	;; [unrolled: 2-line block ×3, first 2 shown]
	v_pk_add_f32 v[114:115], v[120:121], v[114:115]
	v_pk_mul_f32 v[120:121], v[26:27], s[10:11]
	v_mov_b32_e32 v125, v15
	v_pk_fma_f32 v[14:15], v[54:55], s[28:29], v[38:39] neg_lo:[0,0,1] neg_hi:[0,0,1]
	v_mov_b32_e32 v109, v17
	v_pk_fma_f32 v[16:17], v[54:55], s[36:37], v[106:107] neg_lo:[0,0,1] neg_hi:[0,0,1]
	v_pk_fma_f32 v[42:43], v[42:43], s[26:27], v[120:121] neg_lo:[1,0,0] neg_hi:[1,0,0]
	v_pk_fma_f32 v[128:129], v[56:57], s[26:27], v[120:121]
	v_mov_b32_e32 v127, v15
	v_pk_fma_f32 v[14:15], v[56:57], s[26:27], v[120:121] neg_lo:[0,0,1] neg_hi:[0,0,1]
	v_mov_b32_e32 v113, v17
	v_pk_fma_f32 v[16:17], v[56:57], s[28:29], v[110:111] neg_lo:[0,0,1] neg_hi:[0,0,1]
	v_mov_b32_e32 v43, v129
	v_mov_b32_e32 v129, v15
	v_pk_add_f32 v[14:15], v[118:119], v[0:1]
	v_mov_b32_e32 v117, v17
	v_pk_add_f32 v[16:17], v[96:97], v[0:1]
	v_pk_add_f32 v[14:15], v[122:123], v[14:15]
	;; [unrolled: 1-line block ×9, first 2 shown]
	ds_write2_b64 v21, v[14:15], v[16:17] offset0:6 offset1:7
	v_pk_fma_f32 v[14:15], v[36:37], s[26:27], v[76:77] neg_lo:[0,0,1] neg_hi:[0,0,1]
	v_pk_fma_f32 v[2:3], v[2:3], s[2:3], v[6:7]
	v_pk_fma_f32 v[6:7], v[12:13], s[10:11], v[6:7] neg_lo:[1,0,0] neg_hi:[1,0,0]
	v_pk_fma_f32 v[12:13], v[26:27], s[34:35], v[72:73] neg_lo:[1,0,0] neg_hi:[1,0,0]
	;; [unrolled: 1-line block ×3, first 2 shown]
	v_mov_b32_e32 v81, v15
	v_pk_fma_f32 v[14:15], v[46:47], s[22:23], v[82:83] neg_lo:[0,0,1] neg_hi:[0,0,1]
	v_mov_b32_e32 v3, v8
	v_mov_b32_e32 v67, v27
	v_pk_fma_f32 v[26:27], v[54:55], s[24:25], v[58:59] neg_lo:[0,0,1] neg_hi:[0,0,1]
	v_mov_b32_e32 v87, v15
	v_pk_fma_f32 v[14:15], v[52:53], s[28:29], v[84:85] neg_lo:[0,0,1] neg_hi:[0,0,1]
	v_pk_fma_f32 v[4:5], v[4:5], s[6:7], v[2:3] neg_lo:[1,0,0] neg_hi:[1,0,0]
	v_mov_b32_e32 v3, v44
	v_mov_b32_e32 v71, v27
	v_pk_fma_f32 v[26:27], v[36:37], s[20:21], v[50:51] neg_lo:[0,0,1] neg_hi:[0,0,1]
	v_mov_b32_e32 v91, v15
	v_pk_fma_f32 v[14:15], v[54:55], s[2:3], v[88:89] neg_lo:[0,0,1] neg_hi:[0,0,1]
	v_pk_fma_f32 v[8:9], v[10:11], s[12:13], v[40:41]
	v_pk_fma_f32 v[10:11], v[34:35], s[14:15], v[2:3] neg_lo:[1,0,0] neg_hi:[1,0,0]
	v_mov_b32_e32 v49, v27
	v_pk_fma_f32 v[26:27], v[46:47], s[16:17], v[62:63] neg_lo:[0,0,1] neg_hi:[0,0,1]
	v_mov_b32_e32 v95, v15
	;; [unrolled: 2-line block ×3, first 2 shown]
	v_mov_b32_e32 v65, v27
	v_pk_add_f32 v[26:27], v[48:49], v[0:1]
	v_mov_b32_e32 v99, v15
	v_pk_add_f32 v[14:15], v[80:81], v[0:1]
	v_pk_add_f32 v[0:1], v[2:3], v[0:1]
	v_mov_b32_e32 v32, v9
	v_pk_add_f32 v[26:27], v[64:65], v[26:27]
	v_pk_add_f32 v[14:15], v[86:87], v[14:15]
	;; [unrolled: 1-line block ×3, first 2 shown]
	v_mov_b32_e32 v9, v7
	v_pk_add_f32 v[26:27], v[66:67], v[26:27]
	v_pk_add_f32 v[14:15], v[90:91], v[14:15]
	;; [unrolled: 1-line block ×3, first 2 shown]
	v_mov_b32_e32 v30, v29
	s_movk_i32 s2, 0xffb0
	v_mov_b32_e32 v12, v74
	v_pk_add_f32 v[26:27], v[70:71], v[26:27]
	v_pk_add_f32 v[14:15], v[94:95], v[14:15]
	;; [unrolled: 1-line block ×3, first 2 shown]
	v_mov_b32_e32 v29, v11
	v_mad_i32_i24 v18, v20, s2, v21
	v_pk_add_f32 v[42:43], v[42:43], v[114:115]
	v_pk_add_f32 v[12:13], v[12:13], v[26:27]
	;; [unrolled: 1-line block ×4, first 2 shown]
	v_add_u32_e32 v4, 0x1200, v18
	v_add_u32_e32 v8, 0x2400, v18
	ds_write2_b64 v21, v[78:79], v[42:43] offset0:4 offset1:5
	ds_write2_b64 v21, v[14:15], v[12:13] offset0:8 offset1:9
	ds_write_b64 v21, v[16:17] offset:80
	s_waitcnt lgkmcnt(0)
	s_barrier
	ds_read2_b64 v[0:3], v18 offset1:165
	ds_read2_b64 v[4:7], v4 offset0:29 offset1:194
	ds_read2_b64 v[8:11], v8 offset0:58 offset1:223
	ds_read_b64 v[14:15], v18 offset:2640
	ds_read_b64 v[26:27], v18 offset:7480
	;; [unrolled: 1-line block ×3, first 2 shown]
	v_mul_i32_i24_e32 v28, 0xffffffb0, v20
	s_movk_i32 s2, 0x6e
	v_cmp_gt_u32_e32 vcc, s2, v20
	v_add_u32_e32 v21, v21, v28
                                        ; implicit-def: $vgpr28
                                        ; implicit-def: $vgpr30
	s_and_saveexec_b64 s[2:3], vcc
	s_cbranch_execz .LBB0_13
; %bb.12:
	ds_read_b64 v[28:29], v21 offset:13640
	ds_read_b64 v[12:13], v21 offset:3960
	;; [unrolled: 1-line block ×3, first 2 shown]
	s_waitcnt lgkmcnt(2)
	v_mov_b32_e32 v30, v29
.LBB0_13:
	s_or_b64 exec, exec, s[2:3]
	v_add_u32_e32 v37, 0xa5, v20
	s_mov_b32 s2, 0xba2f
	v_mul_u32_u24_sdwa v31, v37, s2 dst_sel:DWORD dst_unused:UNUSED_PAD src0_sel:WORD_0 src1_sel:DWORD
	v_lshrrev_b32_e32 v33, 19, v31
	v_add_u32_e32 v36, 0x14a, v20
	v_mul_lo_u16_e32 v31, 11, v33
	v_add_u32_e32 v29, 0x1ef, v20
	v_sub_u16_e32 v35, v37, v31
	v_mul_u32_u24_sdwa v31, v36, s2 dst_sel:DWORD dst_unused:UNUSED_PAD src0_sel:WORD_0 src1_sel:DWORD
	v_lshrrev_b32_e32 v54, 19, v31
	v_mul_u32_u24_sdwa v31, v29, s2 dst_sel:DWORD dst_unused:UNUSED_PAD src0_sel:WORD_0 src1_sel:DWORD
	s_movk_i32 s2, 0x75
	v_lshrrev_b32_e32 v31, 19, v31
	v_mul_lo_u16_sdwa v50, v20, s2 dst_sel:DWORD dst_unused:UNUSED_PAD src0_sel:BYTE_0 src1_sel:DWORD
	v_mul_lo_u16_e32 v34, 11, v31
	v_sub_u16_sdwa v51, v20, v50 dst_sel:DWORD dst_unused:UNUSED_PAD src0_sel:DWORD src1_sel:BYTE_1
	v_sub_u16_e32 v34, v29, v34
	v_lshrrev_b16_e32 v51, 1, v51
	v_mul_lo_u16_e32 v32, 11, v54
	v_lshlrev_b32_e32 v29, 4, v34
	v_and_b32_e32 v51, 0x7f, v51
	global_load_dwordx4 v[38:41], v29, s[4:5]
	v_sub_u16_e32 v29, v36, v32
	v_add_u16_sdwa v50, v51, v50 dst_sel:DWORD dst_unused:UNUSED_PAD src0_sel:DWORD src1_sel:BYTE_1
	v_lshlrev_b32_e32 v32, 4, v29
	v_lshrrev_b16_e32 v55, 3, v50
	global_load_dwordx4 v[42:45], v32, s[4:5]
	v_lshlrev_b32_e32 v32, 4, v35
	v_mul_lo_u16_e32 v50, 11, v55
	global_load_dwordx4 v[46:49], v32, s[4:5]
	v_mov_b32_e32 v32, 4
	v_sub_u16_e32 v56, v20, v50
	v_lshlrev_b32_sdwa v32, v32, v56 dst_sel:DWORD dst_unused:UNUSED_PAD src0_sel:DWORD src1_sel:BYTE_0
	global_load_dwordx4 v[50:53], v32, s[4:5]
	s_waitcnt lgkmcnt(0)
	v_mov_b32_e32 v32, v17
	v_mov_b32_e32 v17, 3
	v_mul_u32_u24_e32 v33, 0x108, v33
	v_mul_u32_u24_e32 v54, 0x108, v54
	v_lshlrev_b32_e32 v29, 3, v29
	v_lshlrev_b32_e32 v35, 3, v35
	v_add3_u32 v66, 0, v54, v29
	v_mul_u32_u24_e32 v29, 0x108, v55
	v_lshlrev_b32_sdwa v17, v17, v56 dst_sel:DWORD dst_unused:UNUSED_PAD src0_sel:DWORD src1_sel:BYTE_0
	v_add3_u32 v35, 0, v33, v35
	v_add3_u32 v67, 0, v29, v17
	s_mov_b32 s2, 0x3f5db3d7
	s_barrier
	s_waitcnt vmcnt(3)
	v_pk_mul_f32 v[54:55], v[32:33], v[38:39] op_sel:[0,1] op_sel_hi:[0,0]
	v_mov_b32_e32 v56, v41
	v_mov_b32_e32 v57, v40
	v_pk_fma_f32 v[32:33], v[16:17], v[38:39], v[54:55] neg_lo:[0,0,1] neg_hi:[0,0,1]
	v_pk_fma_f32 v[16:17], v[16:17], v[38:39], v[54:55] op_sel_hi:[0,1,1]
	s_waitcnt vmcnt(2)
	v_pk_mul_f32 v[58:59], v[42:43], v[26:27] op_sel:[0,1]
	v_pk_mul_f32 v[60:61], v[44:45], v[18:19] op_sel:[0,1]
	v_pk_mul_f32 v[38:39], v[30:31], v[56:57] op_sel_hi:[0,1]
	s_waitcnt vmcnt(1)
	v_pk_mul_f32 v[62:63], v[46:47], v[6:7] op_sel:[0,1]
	v_pk_fma_f32 v[54:55], v[42:43], v[26:27], v[58:59] op_sel:[0,0,1] op_sel_hi:[1,1,0] neg_lo:[0,0,1] neg_hi:[0,0,1]
	v_pk_fma_f32 v[26:27], v[42:43], v[26:27], v[58:59] op_sel:[0,0,1] op_sel_hi:[1,0,0]
	v_pk_fma_f32 v[42:43], v[44:45], v[18:19], v[60:61] op_sel:[0,0,1] op_sel_hi:[1,1,0] neg_lo:[0,0,1] neg_hi:[0,0,1]
	v_pk_fma_f32 v[18:19], v[44:45], v[18:19], v[60:61] op_sel:[0,0,1] op_sel_hi:[1,0,0]
	;; [unrolled: 2-line block ×3, first 2 shown]
	v_mov_b32_e32 v33, v17
	v_pk_fma_f32 v[6:7], v[28:29], v[40:41], v[38:39] neg_lo:[0,0,1] neg_hi:[0,0,1]
	v_pk_fma_f32 v[16:17], v[28:29], v[40:41], v[38:39] op_sel_hi:[0,1,1]
	s_waitcnt vmcnt(0)
	v_pk_mul_f32 v[28:29], v[50:51], v[4:5] op_sel:[0,1]
	v_pk_mul_f32 v[38:39], v[52:53], v[8:9] op_sel:[0,1]
	v_mov_b32_e32 v45, v47
	v_pk_fma_f32 v[40:41], v[50:51], v[4:5], v[28:29] op_sel:[0,0,1] op_sel_hi:[1,1,0] neg_lo:[0,0,1] neg_hi:[0,0,1]
	v_pk_fma_f32 v[4:5], v[50:51], v[4:5], v[28:29] op_sel:[0,0,1] op_sel_hi:[1,0,0]
	v_pk_fma_f32 v[46:47], v[52:53], v[8:9], v[38:39] op_sel:[0,0,1] op_sel_hi:[1,1,0] neg_lo:[0,0,1] neg_hi:[0,0,1]
	v_pk_fma_f32 v[8:9], v[52:53], v[8:9], v[38:39] op_sel:[0,0,1] op_sel_hi:[1,0,0]
	v_mov_b32_e32 v41, v5
	v_mov_b32_e32 v47, v9
	v_mov_b32_e32 v7, v17
	v_pk_add_f32 v[8:9], v[40:41], v[46:47]
	v_mov_b32_e32 v55, v27
	v_mov_b32_e32 v43, v19
	v_pk_add_f32 v[18:19], v[32:33], v[6:7]
	v_pk_add_f32 v[26:27], v[32:33], v[6:7] neg_lo:[0,1] neg_hi:[0,1]
	v_pk_add_f32 v[4:5], v[0:1], v[40:41]
	v_pk_fma_f32 v[0:1], v[8:9], 0.5, v[0:1] op_sel_hi:[1,0,1] neg_lo:[1,0,0] neg_hi:[1,0,0]
	v_pk_add_f32 v[8:9], v[40:41], v[46:47] neg_lo:[0,1] neg_hi:[0,1]
	v_pk_mul_f32 v[64:65], v[48:49], v[10:11] op_sel:[0,1]
	v_pk_fma_f32 v[18:19], v[18:19], 0.5, v[12:13] op_sel_hi:[1,0,1] neg_lo:[1,0,0] neg_hi:[1,0,0]
	v_pk_mul_f32 v[26:27], v[26:27], s[2:3] op_sel_hi:[1,0]
	v_pk_mul_f32 v[8:9], v[8:9], s[2:3] op_sel_hi:[1,0]
	v_pk_fma_f32 v[56:57], v[48:49], v[10:11], v[64:65] op_sel:[0,0,1] op_sel_hi:[1,1,0] neg_lo:[0,0,1] neg_hi:[0,0,1]
	v_pk_fma_f32 v[10:11], v[48:49], v[10:11], v[64:65] op_sel:[0,0,1] op_sel_hi:[1,0,0]
	v_pk_add_f32 v[38:39], v[18:19], v[26:27] op_sel:[0,1] op_sel_hi:[1,0]
	v_pk_add_f32 v[28:29], v[18:19], v[26:27] op_sel:[0,1] op_sel_hi:[1,0] neg_lo:[0,1] neg_hi:[0,1]
	v_pk_add_f32 v[18:19], v[0:1], v[8:9] op_sel:[0,1] op_sel_hi:[1,0]
	v_pk_add_f32 v[0:1], v[0:1], v[8:9] op_sel:[0,1] op_sel_hi:[1,0] neg_lo:[0,1] neg_hi:[0,1]
	v_mov_b32_e32 v57, v11
	v_mov_b32_e32 v9, v1
	;; [unrolled: 1-line block ×3, first 2 shown]
	ds_write_b64 v67, v[0:1] offset:176
	v_pk_add_f32 v[0:1], v[44:45], v[56:57]
	v_pk_add_f32 v[16:17], v[2:3], v[44:45]
	v_pk_fma_f32 v[0:1], v[0:1], 0.5, v[2:3] op_sel_hi:[1,0,1] neg_lo:[1,0,0] neg_hi:[1,0,0]
	v_pk_add_f32 v[2:3], v[44:45], v[56:57] neg_lo:[0,1] neg_hi:[0,1]
	v_pk_add_f32 v[4:5], v[4:5], v[46:47]
	v_mov_b32_e32 v8, v18
	v_pk_mul_f32 v[2:3], v[2:3], s[2:3] op_sel_hi:[1,0]
	ds_write2_b64 v67, v[4:5], v[8:9] offset1:11
	v_pk_add_f32 v[4:5], v[0:1], v[2:3] op_sel:[0,1] op_sel_hi:[1,0]
	v_pk_add_f32 v[0:1], v[0:1], v[2:3] op_sel:[0,1] op_sel_hi:[1,0] neg_lo:[0,1] neg_hi:[0,1]
	v_pk_add_f32 v[16:17], v[16:17], v[56:57]
	v_mov_b32_e32 v2, v4
	v_mov_b32_e32 v3, v1
	;; [unrolled: 1-line block ×3, first 2 shown]
	ds_write2_b64 v35, v[16:17], v[2:3] offset1:11
	ds_write_b64 v35, v[0:1] offset:176
	v_pk_add_f32 v[0:1], v[54:55], v[42:43]
	v_pk_add_f32 v[2:3], v[54:55], v[42:43] neg_lo:[0,1] neg_hi:[0,1]
	v_pk_fma_f32 v[0:1], v[0:1], 0.5, v[14:15] op_sel_hi:[1,0,1] neg_lo:[1,0,0] neg_hi:[1,0,0]
	v_pk_mul_f32 v[2:3], v[2:3], s[2:3] op_sel_hi:[1,0]
	v_pk_add_f32 v[10:11], v[14:15], v[54:55]
	v_pk_add_f32 v[4:5], v[0:1], v[2:3] op_sel:[0,1] op_sel_hi:[1,0]
	v_pk_add_f32 v[0:1], v[0:1], v[2:3] op_sel:[0,1] op_sel_hi:[1,0] neg_lo:[0,1] neg_hi:[0,1]
	v_pk_add_f32 v[10:11], v[10:11], v[42:43]
	v_mov_b32_e32 v26, v38
	v_mov_b32_e32 v27, v29
	;; [unrolled: 1-line block ×6, first 2 shown]
	ds_write2_b64 v66, v[10:11], v[2:3] offset1:11
	ds_write_b64 v66, v[0:1] offset:176
	s_and_saveexec_b64 s[2:3], vcc
	s_cbranch_execz .LBB0_15
; %bb.14:
	v_mul_lo_u16_e32 v0, 33, v31
	v_lshlrev_b32_e32 v1, 3, v34
	v_lshlrev_b32_e32 v0, 3, v0
	v_add3_u32 v2, 0, v1, v0
	v_pk_add_f32 v[0:1], v[12:13], v[32:33]
	s_nop 0
	v_pk_add_f32 v[0:1], v[0:1], v[6:7]
	ds_write2_b64 v2, v[0:1], v[26:27] offset1:11
	ds_write_b64 v2, v[28:29] offset:176
.LBB0_15:
	s_or_b64 exec, exec, s[2:3]
	v_add_u32_e32 v4, 0xa00, v21
	v_add_u32_e32 v8, 0x1400, v21
	;; [unrolled: 1-line block ×4, first 2 shown]
	s_waitcnt lgkmcnt(0)
	s_barrier
	ds_read2_b64 v[0:3], v21 offset1:165
	ds_read2_b64 v[4:7], v4 offset0:43 offset1:208
	ds_read2_b64 v[8:11], v8 offset0:86 offset1:251
	;; [unrolled: 1-line block ×4, first 2 shown]
	v_cmp_gt_u32_e32 vcc, 33, v20
                                        ; implicit-def: $vgpr32
                                        ; implicit-def: $vgpr30
                                        ; implicit-def: $vgpr34
	s_and_saveexec_b64 s[2:3], vcc
	s_cbranch_execz .LBB0_17
; %bb.16:
	ds_read_b64 v[26:27], v21 offset:2640
	ds_read_b64 v[28:29], v21 offset:5544
	;; [unrolled: 1-line block ×5, first 2 shown]
.LBB0_17:
	s_or_b64 exec, exec, s[2:3]
	s_movk_i32 s2, 0xf9
	v_mul_lo_u16_sdwa v38, v20, s2 dst_sel:DWORD dst_unused:UNUSED_PAD src0_sel:BYTE_0 src1_sel:DWORD
	s_mov_b32 s3, 0xf83f
	v_lshrrev_b16_e32 v54, 13, v38
	v_mul_u32_u24_sdwa v38, v37, s3 dst_sel:DWORD dst_unused:UNUSED_PAD src0_sel:WORD_0 src1_sel:DWORD
	v_lshrrev_b32_e32 v55, 21, v38
	v_mul_lo_u16_e32 v46, 33, v54
	v_mul_lo_u16_e32 v38, 33, v55
	v_sub_u16_e32 v37, v37, v38
	v_sub_u16_e32 v56, v20, v46
	v_mov_b32_e32 v46, 5
	v_lshlrev_b32_e32 v47, 5, v37
	v_lshlrev_b32_sdwa v57, v46, v56 dst_sel:DWORD dst_unused:UNUSED_PAD src0_sel:DWORD src1_sel:BYTE_0
	global_load_dwordx4 v[38:41], v47, s[4:5] offset:192
	global_load_dwordx4 v[42:45], v47, s[4:5] offset:176
	s_nop 0
	global_load_dwordx4 v[46:49], v57, s[4:5] offset:176
	global_load_dwordx4 v[50:53], v57, s[4:5] offset:192
	v_mov_b32_e32 v57, 3
	v_mul_u32_u24_e32 v54, 0x528, v54
	v_mul_u32_u24_e32 v55, 0x528, v55
	v_lshlrev_b32_sdwa v56, v57, v56 dst_sel:DWORD dst_unused:UNUSED_PAD src0_sel:DWORD src1_sel:BYTE_0
	v_lshlrev_b32_e32 v37, 3, v37
	v_add3_u32 v72, 0, v54, v56
	v_add3_u32 v37, 0, v55, v37
	s_mov_b32 s6, 0x3f737871
	s_mov_b32 s8, 0x3f167918
	;; [unrolled: 1-line block ×3, first 2 shown]
	s_waitcnt lgkmcnt(0)
	s_barrier
	s_waitcnt vmcnt(3)
	v_pk_mul_f32 v[58:59], v[38:39], v[14:15] op_sel:[0,1]
	s_waitcnt vmcnt(2)
	v_pk_mul_f32 v[54:55], v[42:43], v[6:7] op_sel:[0,1]
	v_pk_mul_f32 v[56:57], v[44:45], v[10:11] op_sel:[0,1]
	;; [unrolled: 1-line block ×3, first 2 shown]
	s_waitcnt vmcnt(1)
	v_pk_mul_f32 v[62:63], v[46:47], v[4:5] op_sel:[0,1]
	v_pk_mul_f32 v[64:65], v[48:49], v[8:9] op_sel:[0,1]
	s_waitcnt vmcnt(0)
	v_pk_mul_f32 v[66:67], v[50:51], v[12:13] op_sel:[0,1]
	v_pk_mul_f32 v[68:69], v[52:53], v[16:17] op_sel:[0,1]
	v_pk_fma_f32 v[70:71], v[42:43], v[6:7], v[54:55] op_sel:[0,0,1] op_sel_hi:[1,1,0] neg_lo:[0,0,1] neg_hi:[0,0,1]
	v_pk_fma_f32 v[6:7], v[42:43], v[6:7], v[54:55] op_sel:[0,0,1] op_sel_hi:[1,0,0]
	v_pk_fma_f32 v[42:43], v[44:45], v[10:11], v[56:57] op_sel:[0,0,1] op_sel_hi:[1,1,0] neg_lo:[0,0,1] neg_hi:[0,0,1]
	v_pk_fma_f32 v[10:11], v[44:45], v[10:11], v[56:57] op_sel:[0,0,1] op_sel_hi:[1,0,0]
	;; [unrolled: 2-line block ×8, first 2 shown]
	v_mov_b32_e32 v41, v5
	v_mov_b32_e32 v47, v9
	;; [unrolled: 1-line block ×6, first 2 shown]
	v_pk_add_f32 v[6:7], v[0:1], v[40:41]
	v_pk_add_f32 v[8:9], v[46:47], v[48:49]
	v_pk_add_f32 v[10:11], v[40:41], v[50:51] neg_lo:[0,1] neg_hi:[0,1]
	v_mov_b32_e32 v45, v15
	v_mov_b32_e32 v39, v19
	v_pk_add_f32 v[12:13], v[46:47], v[48:49] neg_lo:[0,1] neg_hi:[0,1]
	v_pk_add_f32 v[14:15], v[40:41], v[46:47] neg_lo:[0,1] neg_hi:[0,1]
	v_pk_add_f32 v[18:19], v[40:41], v[50:51]
	v_pk_add_f32 v[40:41], v[46:47], v[40:41] neg_lo:[0,1] neg_hi:[0,1]
	v_pk_add_f32 v[6:7], v[6:7], v[46:47]
	v_pk_fma_f32 v[8:9], v[8:9], 0.5, v[0:1] op_sel_hi:[1,0,1] neg_lo:[1,0,0] neg_hi:[1,0,0]
	v_pk_mul_f32 v[46:47], v[10:11], s[6:7] op_sel_hi:[1,0]
	v_pk_add_f32 v[16:17], v[50:51], v[48:49] neg_lo:[0,1] neg_hi:[0,1]
	v_pk_add_f32 v[52:53], v[48:49], v[50:51] neg_lo:[0,1] neg_hi:[0,1]
	v_pk_mul_f32 v[54:55], v[12:13], s[8:9] op_sel_hi:[1,0]
	v_pk_fma_f32 v[0:1], v[18:19], 0.5, v[0:1] op_sel_hi:[1,0,1] neg_lo:[1,0,0] neg_hi:[1,0,0]
	v_pk_mul_f32 v[12:13], v[12:13], s[6:7] op_sel_hi:[1,0]
	v_pk_add_f32 v[18:19], v[8:9], v[46:47] op_sel:[0,1] op_sel_hi:[1,0]
	v_pk_add_f32 v[8:9], v[8:9], v[46:47] op_sel:[0,1] op_sel_hi:[1,0] neg_lo:[0,1] neg_hi:[0,1]
	v_pk_add_f32 v[14:15], v[14:15], v[16:17]
	v_pk_add_f32 v[16:17], v[40:41], v[52:53]
	v_pk_add_f32 v[40:41], v[0:1], v[12:13] op_sel:[0,1] op_sel_hi:[1,0] neg_lo:[0,1] neg_hi:[0,1]
	v_pk_add_f32 v[0:1], v[0:1], v[12:13] op_sel:[0,1] op_sel_hi:[1,0]
	v_pk_add_f32 v[8:9], v[8:9], v[54:55] op_sel:[0,1] op_sel_hi:[1,0] neg_lo:[0,1] neg_hi:[0,1]
	v_pk_add_f32 v[12:13], v[18:19], v[54:55] op_sel:[0,1] op_sel_hi:[1,0]
	v_pk_add_f32 v[6:7], v[6:7], v[48:49]
	v_mov_b32_e32 v18, v12
	v_mov_b32_e32 v19, v9
	v_pk_mul_f32 v[10:11], v[10:11], s[8:9] op_sel_hi:[1,0]
	v_pk_add_f32 v[6:7], v[6:7], v[50:51]
	v_pk_fma_f32 v[18:19], v[14:15], s[2:3], v[18:19] op_sel_hi:[1,0,1]
	ds_write2_b64 v72, v[6:7], v[18:19] offset1:33
	v_pk_add_f32 v[0:1], v[0:1], v[10:11] op_sel:[0,1] op_sel_hi:[1,0] neg_lo:[0,1] neg_hi:[0,1]
	v_pk_add_f32 v[6:7], v[40:41], v[10:11] op_sel:[0,1] op_sel_hi:[1,0]
	v_mov_b32_e32 v11, v1
	v_mov_b32_e32 v10, v6
	;; [unrolled: 1-line block ×3, first 2 shown]
	v_pk_fma_f32 v[10:11], v[16:17], s[2:3], v[10:11] op_sel_hi:[1,0,1]
	v_pk_fma_f32 v[0:1], v[16:17], s[2:3], v[0:1] op_sel_hi:[1,0,1]
	v_mov_b32_e32 v9, v13
	ds_write2_b64 v72, v[10:11], v[0:1] offset0:66 offset1:99
	v_pk_fma_f32 v[0:1], v[14:15], s[2:3], v[8:9] op_sel_hi:[1,0,1]
	ds_write_b64 v72, v[0:1] offset:1056
	v_pk_add_f32 v[0:1], v[42:43], v[44:45]
	v_pk_add_f32 v[6:7], v[70:71], v[38:39] neg_lo:[0,1] neg_hi:[0,1]
	v_pk_fma_f32 v[0:1], v[0:1], 0.5, v[2:3] op_sel_hi:[1,0,1] neg_lo:[1,0,0] neg_hi:[1,0,0]
	v_pk_mul_f32 v[8:9], v[6:7], s[6:7] op_sel_hi:[1,0]
	v_pk_add_f32 v[10:11], v[42:43], v[44:45] neg_lo:[0,1] neg_hi:[0,1]
	v_pk_add_f32 v[14:15], v[70:71], v[42:43] neg_lo:[0,1] neg_hi:[0,1]
	;; [unrolled: 1-line block ×3, first 2 shown]
	v_pk_add_f32 v[4:5], v[2:3], v[70:71]
	v_pk_mul_f32 v[12:13], v[10:11], s[8:9] op_sel_hi:[1,0]
	v_pk_add_f32 v[14:15], v[14:15], v[16:17]
	v_pk_add_f32 v[16:17], v[0:1], v[8:9] op_sel:[0,1] op_sel_hi:[1,0]
	v_pk_add_f32 v[0:1], v[0:1], v[8:9] op_sel:[0,1] op_sel_hi:[1,0] neg_lo:[0,1] neg_hi:[0,1]
	v_pk_add_f32 v[4:5], v[4:5], v[42:43]
	v_pk_add_f32 v[0:1], v[0:1], v[12:13] op_sel:[0,1] op_sel_hi:[1,0] neg_lo:[0,1] neg_hi:[0,1]
	v_pk_add_f32 v[8:9], v[16:17], v[12:13] op_sel:[0,1] op_sel_hi:[1,0]
	v_pk_add_f32 v[4:5], v[4:5], v[44:45]
	v_mov_b32_e32 v12, v8
	v_mov_b32_e32 v13, v1
	v_pk_add_f32 v[4:5], v[4:5], v[38:39]
	v_pk_fma_f32 v[12:13], v[14:15], s[2:3], v[12:13] op_sel_hi:[1,0,1]
	ds_write2_b64 v37, v[4:5], v[12:13] offset1:33
	v_pk_add_f32 v[4:5], v[70:71], v[38:39]
	v_pk_add_f32 v[12:13], v[44:45], v[38:39] neg_lo:[0,1] neg_hi:[0,1]
	v_pk_fma_f32 v[2:3], v[4:5], 0.5, v[2:3] op_sel_hi:[1,0,1] neg_lo:[1,0,0] neg_hi:[1,0,0]
	v_pk_add_f32 v[4:5], v[42:43], v[70:71] neg_lo:[0,1] neg_hi:[0,1]
	v_pk_mul_f32 v[10:11], v[10:11], s[6:7] op_sel_hi:[1,0]
	v_pk_add_f32 v[4:5], v[4:5], v[12:13]
	v_pk_mul_f32 v[6:7], v[6:7], s[8:9] op_sel_hi:[1,0]
	v_pk_add_f32 v[12:13], v[2:3], v[10:11] op_sel:[0,1] op_sel_hi:[1,0] neg_lo:[0,1] neg_hi:[0,1]
	v_pk_add_f32 v[2:3], v[2:3], v[10:11] op_sel:[0,1] op_sel_hi:[1,0]
	v_mov_b32_e32 v1, v9
	v_pk_add_f32 v[2:3], v[2:3], v[6:7] op_sel:[0,1] op_sel_hi:[1,0] neg_lo:[0,1] neg_hi:[0,1]
	v_pk_add_f32 v[6:7], v[12:13], v[6:7] op_sel:[0,1] op_sel_hi:[1,0]
	v_mov_b32_e32 v11, v3
	v_mov_b32_e32 v10, v6
	v_mov_b32_e32 v3, v7
	v_pk_fma_f32 v[10:11], v[4:5], s[2:3], v[10:11] op_sel_hi:[1,0,1]
	v_pk_fma_f32 v[2:3], v[4:5], s[2:3], v[2:3] op_sel_hi:[1,0,1]
	;; [unrolled: 1-line block ×3, first 2 shown]
	ds_write2_b64 v37, v[10:11], v[2:3] offset0:66 offset1:99
	ds_write_b64 v37, v[0:1] offset:1056
	s_and_saveexec_b64 s[10:11], vcc
	s_cbranch_execz .LBB0_19
; %bb.18:
	v_mul_u32_u24_sdwa v0, v36, s3 dst_sel:DWORD dst_unused:UNUSED_PAD src0_sel:WORD_0 src1_sel:DWORD
	v_lshrrev_b32_e32 v0, 21, v0
	v_mul_lo_u16_e32 v0, 33, v0
	v_sub_u16_e32 v9, v36, v0
	v_lshlrev_b32_e32 v8, 5, v9
	global_load_dwordx4 v[0:3], v8, s[4:5] offset:176
	global_load_dwordx4 v[4:7], v8, s[4:5] offset:192
	v_mov_b32_e32 v8, v35
	v_mov_b32_e32 v10, v29
	;; [unrolled: 1-line block ×4, first 2 shown]
	v_lshl_add_u32 v35, v9, 3, 0
	v_add_u32_e32 v36, 0x3000, v35
	s_waitcnt vmcnt(1)
	v_pk_mul_f32 v[8:9], v[8:9], v[2:3] op_sel_hi:[0,1]
	v_pk_mul_f32 v[10:11], v[10:11], v[0:1] op_sel_hi:[0,1]
	s_waitcnt vmcnt(0)
	v_pk_mul_f32 v[12:13], v[12:13], v[4:5] op_sel_hi:[0,1]
	v_pk_mul_f32 v[14:15], v[14:15], v[6:7] op_sel_hi:[0,1]
	v_pk_fma_f32 v[16:17], v[28:29], v[0:1], v[10:11] op_sel:[0,0,1] op_sel_hi:[1,1,0] neg_lo:[0,0,1] neg_hi:[0,0,1]
	v_pk_fma_f32 v[0:1], v[28:29], v[0:1], v[10:11] op_sel:[0,0,1] op_sel_hi:[0,1,0]
	v_pk_fma_f32 v[10:11], v[34:35], v[2:3], v[8:9] op_sel:[0,0,1] op_sel_hi:[1,1,0] neg_lo:[0,0,1] neg_hi:[0,0,1]
	v_pk_fma_f32 v[2:3], v[34:35], v[2:3], v[8:9] op_sel:[0,0,1] op_sel_hi:[0,1,0]
	;; [unrolled: 2-line block ×4, first 2 shown]
	v_mov_b32_e32 v17, v1
	v_mov_b32_e32 v11, v3
	;; [unrolled: 1-line block ×4, first 2 shown]
	v_pk_add_f32 v[0:1], v[26:27], v[16:17]
	v_pk_add_f32 v[2:3], v[16:17], v[8:9] neg_lo:[0,1] neg_hi:[0,1]
	v_pk_add_f32 v[6:7], v[10:11], v[14:15]
	v_pk_add_f32 v[4:5], v[10:11], v[14:15] neg_lo:[0,1] neg_hi:[0,1]
	v_pk_add_f32 v[12:13], v[16:17], v[10:11] neg_lo:[0,1] neg_hi:[0,1]
	;; [unrolled: 1-line block ×3, first 2 shown]
	v_pk_add_f32 v[16:17], v[16:17], v[8:9]
	v_pk_add_f32 v[0:1], v[0:1], v[10:11]
	v_pk_fma_f32 v[6:7], v[6:7], 0.5, v[26:27] op_sel_hi:[1,0,1] neg_lo:[1,0,0] neg_hi:[1,0,0]
	v_pk_mul_f32 v[10:11], v[2:3], s[6:7] op_sel_hi:[1,0]
	v_pk_add_f32 v[18:19], v[8:9], v[14:15] neg_lo:[0,1] neg_hi:[0,1]
	v_pk_add_f32 v[30:31], v[14:15], v[8:9] neg_lo:[0,1] neg_hi:[0,1]
	v_pk_mul_f32 v[32:33], v[4:5], s[8:9] op_sel_hi:[1,0]
	v_pk_fma_f32 v[16:17], v[16:17], 0.5, v[26:27] op_sel_hi:[1,0,1] neg_lo:[1,0,0] neg_hi:[1,0,0]
	v_pk_mul_f32 v[4:5], v[4:5], s[6:7] op_sel_hi:[1,0]
	v_pk_add_f32 v[0:1], v[0:1], v[14:15]
	v_pk_add_f32 v[14:15], v[6:7], v[10:11] op_sel:[0,1] op_sel_hi:[1,0]
	v_pk_add_f32 v[6:7], v[6:7], v[10:11] op_sel:[0,1] op_sel_hi:[1,0] neg_lo:[0,1] neg_hi:[0,1]
	v_pk_mul_f32 v[2:3], v[2:3], s[8:9] op_sel_hi:[1,0]
	v_pk_add_f32 v[10:11], v[16:17], v[4:5] op_sel:[0,1] op_sel_hi:[1,0] neg_lo:[0,1] neg_hi:[0,1]
	v_pk_add_f32 v[4:5], v[16:17], v[4:5] op_sel:[0,1] op_sel_hi:[1,0]
	v_pk_add_f32 v[0:1], v[0:1], v[8:9]
	v_pk_add_f32 v[6:7], v[6:7], v[32:33] op_sel:[0,1] op_sel_hi:[1,0] neg_lo:[0,1] neg_hi:[0,1]
	v_pk_add_f32 v[8:9], v[14:15], v[32:33] op_sel:[0,1] op_sel_hi:[1,0]
	v_pk_add_f32 v[12:13], v[12:13], v[18:19]
	v_pk_add_f32 v[4:5], v[4:5], v[2:3] op_sel:[0,1] op_sel_hi:[1,0] neg_lo:[0,1] neg_hi:[0,1]
	v_pk_add_f32 v[2:3], v[10:11], v[2:3] op_sel:[0,1] op_sel_hi:[1,0]
	v_mov_b32_e32 v10, v8
	v_mov_b32_e32 v11, v7
	v_pk_add_f32 v[18:19], v[28:29], v[30:31]
	v_mov_b32_e32 v14, v2
	v_mov_b32_e32 v15, v5
	;; [unrolled: 1-line block ×4, first 2 shown]
	v_pk_fma_f32 v[2:3], v[12:13], s[2:3], v[10:11] op_sel_hi:[1,0,1]
	v_pk_fma_f32 v[8:9], v[18:19], s[2:3], v[14:15] op_sel_hi:[1,0,1]
	;; [unrolled: 1-line block ×4, first 2 shown]
	ds_write2_b64 v36, v[0:1], v[2:3] offset0:114 offset1:147
	ds_write2_b64 v36, v[8:9], v[4:5] offset0:180 offset1:213
	ds_write_b64 v35, v[6:7] offset:14256
.LBB0_19:
	s_or_b64 exec, exec, s[10:11]
	s_waitcnt lgkmcnt(0)
	s_barrier
	s_and_saveexec_b64 s[2:3], s[0:1]
	s_cbranch_execz .LBB0_21
; %bb.20:
	v_mul_u32_u24_e32 v0, 10, v20
	v_lshlrev_b32_e32 v0, 3, v0
	global_load_dwordx4 v[6:9], v0, s[4:5] offset:1232
	global_load_dwordx4 v[10:13], v0, s[4:5] offset:1296
	;; [unrolled: 1-line block ×5, first 2 shown]
	v_add_u32_e32 v18, 0x2800, v21
	v_lshl_add_u32 v19, v20, 3, 0
	v_add_u32_e32 v20, 0x1400, v21
	v_add_u32_e32 v34, 0x1e00, v21
	ds_read2_b64 v[0:3], v21 offset1:165
	v_lshl_add_u64 v[4:5], v[24:25], 3, v[22:23]
	ds_read2_b64 v[22:25], v18 offset0:40 offset1:205
	ds_read_b64 v[38:39], v21 offset:13200
	ds_read_b64 v[40:41], v21 offset:2640
	;; [unrolled: 1-line block ×3, first 2 shown]
	ds_read2_b64 v[18:21], v20 offset0:20 offset1:185
	ds_read2_b64 v[34:37], v34 offset0:30 offset1:195
	s_mov_b32 s12, 0x3f575c64
	s_mov_b32 s13, 0xbf0a6770
	;; [unrolled: 1-line block ×32, first 2 shown]
	s_waitcnt vmcnt(4) lgkmcnt(6)
	v_mul_f32_e32 v44, v7, v3
	v_mul_f32_e32 v45, v6, v3
	s_waitcnt vmcnt(3) lgkmcnt(4)
	v_pk_mul_f32 v[46:47], v[12:13], v[38:39] op_sel:[0,1]
	v_pk_mul_f32 v[48:49], v[10:11], v[24:25] op_sel:[0,1]
	s_waitcnt lgkmcnt(3)
	v_pk_mul_f32 v[50:51], v[8:9], v[40:41] op_sel:[0,1]
	s_waitcnt vmcnt(2)
	v_pk_mul_f32 v[52:53], v[16:17], v[22:23] op_sel:[0,1]
	s_waitcnt vmcnt(1) lgkmcnt(2)
	v_pk_mul_f32 v[54:55], v[26:27], v[42:43] op_sel:[0,1]
	s_waitcnt lgkmcnt(0)
	v_pk_mul_f32 v[56:57], v[14:15], v[36:37] op_sel:[0,1]
	v_pk_mul_f32 v[58:59], v[28:29], v[18:19] op_sel:[0,1]
	v_fma_f32 v44, v6, v2, -v44
	v_fmac_f32_e32 v45, v7, v2
	v_pk_fma_f32 v[64:65], v[38:39], v[12:13], v[46:47] op_sel:[0,0,1] op_sel_hi:[0,1,0] neg_lo:[0,0,1] neg_hi:[0,0,1]
	v_pk_fma_f32 v[6:7], v[38:39], v[12:13], v[46:47] op_sel:[0,0,1] op_sel_hi:[0,1,0]
	v_pk_fma_f32 v[38:39], v[24:25], v[10:11], v[48:49] op_sel:[0,0,1] op_sel_hi:[1,1,0] neg_lo:[0,0,1] neg_hi:[0,0,1]
	v_pk_fma_f32 v[10:11], v[24:25], v[10:11], v[48:49] op_sel:[0,0,1] op_sel_hi:[0,1,0]
	;; [unrolled: 2-line block ×7, first 2 shown]
	v_mov_b32_e32 v25, v9
	v_mov_b32_e32 v27, v15
	v_pk_add_f32 v[14:15], v[44:45], v[0:1]
	s_waitcnt vmcnt(0)
	v_pk_mul_f32 v[60:61], v[32:33], v[34:35] op_sel:[0,1]
	v_pk_mul_f32 v[62:63], v[30:31], v[20:21] op_sel:[0,1]
	v_mov_b32_e32 v17, v23
	v_mov_b32_e32 v37, v19
	v_pk_add_f32 v[18:19], v[14:15], v[24:25]
	v_pk_fma_f32 v[28:29], v[34:35], v[32:33], v[60:61] op_sel:[0,0,1] op_sel_hi:[1,1,0] neg_lo:[0,0,1] neg_hi:[0,0,1]
	v_pk_fma_f32 v[32:33], v[34:35], v[32:33], v[60:61] op_sel:[0,0,1] op_sel_hi:[0,1,0]
	v_pk_fma_f32 v[34:35], v[30:31], v[20:21], v[62:63] op_sel:[0,0,1] op_sel_hi:[1,1,0] neg_lo:[0,0,1] neg_hi:[0,0,1]
	v_pk_fma_f32 v[20:21], v[30:31], v[20:21], v[62:63] op_sel:[0,0,1] op_sel_hi:[1,0,0]
	v_pk_add_f32 v[18:19], v[18:19], v[16:17]
	v_mov_b32_e32 v35, v21
	v_pk_add_f32 v[18:19], v[18:19], v[36:37]
	v_mov_b32_e32 v29, v33
	;; [unrolled: 2-line block ×5, first 2 shown]
	v_pk_add_f32 v[18:19], v[40:41], v[18:19]
	v_sub_f32_e32 v43, v44, v64
	v_add_f32_e32 v42, v44, v64
	v_pk_add_f32 v[20:21], v[24:25], v[38:39] neg_lo:[0,1] neg_hi:[0,1]
	v_pk_add_f32 v[12:13], v[24:25], v[38:39]
	v_pk_add_f32 v[18:19], v[38:39], v[18:19]
	v_add_f32_e32 v3, v45, v7
	v_sub_f32_e32 v2, v45, v7
	v_pk_mul_f32 v[14:15], v[42:43], s[12:13]
	v_mov_b32_e32 v46, v12
	v_mov_b32_e32 v47, v20
	v_pk_add_f32 v[18:19], v[64:65], v[18:19]
	v_pk_add_f32 v[30:31], v[16:17], v[40:41] neg_lo:[0,1] neg_hi:[0,1]
	v_pk_add_f32 v[10:11], v[16:17], v[40:41]
	v_pk_fma_f32 v[22:23], v[2:3], s[0:1], v[14:15] neg_lo:[1,0,0] neg_hi:[1,0,0]
	v_pk_fma_f32 v[16:17], v[2:3], s[0:1], v[14:15]
	global_store_dwordx2 v[4:5], v[18:19], off
	v_pk_mul_f32 v[18:19], v[46:47], s[6:7]
	v_mov_b32_e32 v12, v21
	v_mov_b32_e32 v23, v17
	v_pk_fma_f32 v[24:25], v[12:13], s[2:3], v[18:19] neg_lo:[1,0,0] neg_hi:[1,0,0]
	v_pk_fma_f32 v[20:21], v[12:13], s[2:3], v[18:19]
	v_pk_add_f32 v[44:45], v[34:35], v[28:29] neg_lo:[0,1] neg_hi:[0,1]
	v_pk_add_f32 v[6:7], v[34:35], v[28:29]
	v_pk_add_f32 v[22:23], v[22:23], v[0:1]
	v_mov_b32_e32 v25, v21
	v_mov_b32_e32 v34, v10
	;; [unrolled: 1-line block ×3, first 2 shown]
	v_pk_add_f32 v[32:33], v[36:37], v[26:27] neg_lo:[0,1] neg_hi:[0,1]
	v_pk_add_f32 v[8:9], v[36:37], v[26:27]
	v_pk_add_f32 v[26:27], v[22:23], v[24:25]
	v_pk_mul_f32 v[22:23], v[34:35], s[20:21]
	v_mov_b32_e32 v10, v31
	v_pk_fma_f32 v[28:29], v[10:11], s[4:5], v[22:23] neg_lo:[1,0,0] neg_hi:[1,0,0]
	v_pk_fma_f32 v[24:25], v[10:11], s[4:5], v[22:23]
	v_mov_b32_e32 v36, v8
	v_mov_b32_e32 v29, v25
	;; [unrolled: 1-line block ×3, first 2 shown]
	v_pk_add_f32 v[30:31], v[26:27], v[28:29]
	v_pk_mul_f32 v[26:27], v[36:37], s[22:23]
	v_mov_b32_e32 v8, v33
	v_pk_fma_f32 v[32:33], v[8:9], s[8:9], v[26:27] neg_lo:[1,0,0] neg_hi:[1,0,0]
	v_pk_fma_f32 v[28:29], v[8:9], s[8:9], v[26:27]
	v_mov_b32_e32 v40, v6
	v_mov_b32_e32 v33, v29
	;; [unrolled: 1-line block ×3, first 2 shown]
	v_pk_add_f32 v[38:39], v[30:31], v[32:33]
	v_pk_mul_f32 v[30:31], v[40:41], s[26:27]
	v_mov_b32_e32 v6, v45
	v_pk_fma_f32 v[44:45], v[6:7], s[10:11], v[30:31] neg_lo:[1,0,0] neg_hi:[1,0,0]
	v_pk_fma_f32 v[32:33], v[6:7], s[10:11], v[30:31]
	v_pk_mul_f32 v[50:51], v[46:47], s[22:23]
	v_mov_b32_e32 v45, v33
	v_pk_add_f32 v[38:39], v[38:39], v[44:45]
	global_store_dwordx2 v[4:5], v[38:39], off offset:1320
	v_pk_mul_f32 v[38:39], v[42:43], s[6:7]
	v_pk_fma_f32 v[52:53], v[12:13], s[8:9], v[50:51] neg_lo:[1,0,0] neg_hi:[1,0,0]
	v_pk_fma_f32 v[44:45], v[2:3], s[2:3], v[38:39] neg_lo:[1,0,0] neg_hi:[1,0,0]
	v_pk_fma_f32 v[48:49], v[2:3], s[2:3], v[38:39]
	v_pk_fma_f32 v[54:55], v[12:13], s[8:9], v[50:51]
	v_mov_b32_e32 v45, v49
	v_pk_add_f32 v[44:45], v[44:45], v[0:1]
	v_mov_b32_e32 v53, v55
	v_pk_add_f32 v[44:45], v[44:45], v[52:53]
	v_pk_mul_f32 v[52:53], v[34:35], s[24:25]
	v_pk_mul_f32 v[70:71], v[46:47], s[24:25]
	v_pk_fma_f32 v[56:57], v[10:11], s[14:15], v[52:53] neg_lo:[1,0,0] neg_hi:[1,0,0]
	v_pk_fma_f32 v[58:59], v[10:11], s[14:15], v[52:53]
	v_pk_fma_f32 v[72:73], v[12:13], s[14:15], v[70:71] neg_lo:[1,0,0] neg_hi:[1,0,0]
	v_mov_b32_e32 v57, v59
	v_pk_add_f32 v[44:45], v[44:45], v[56:57]
	v_pk_mul_f32 v[56:57], v[36:37], s[28:29]
	v_pk_fma_f32 v[74:75], v[12:13], s[14:15], v[70:71]
	v_pk_fma_f32 v[60:61], v[8:9], s[16:17], v[56:57] neg_lo:[1,0,0] neg_hi:[1,0,0]
	v_pk_fma_f32 v[62:63], v[8:9], s[16:17], v[56:57]
	v_mov_b32_e32 v73, v75
	v_mov_b32_e32 v61, v63
	v_pk_add_f32 v[44:45], v[44:45], v[60:61]
	v_pk_mul_f32 v[60:61], v[40:41], s[30:31]
	s_mov_b32 s7, 0x3f68dda4
	v_pk_fma_f32 v[64:65], v[6:7], s[18:19], v[60:61] neg_lo:[1,0,0] neg_hi:[1,0,0]
	v_pk_fma_f32 v[66:67], v[6:7], s[18:19], v[60:61]
	s_mov_b32 s24, s7
	v_mov_b32_e32 v65, v67
	v_pk_add_f32 v[44:45], v[44:45], v[64:65]
	global_store_dwordx2 v[4:5], v[44:45], off offset:2640
	v_pk_mul_f32 v[44:45], v[42:43], s[20:21]
	s_mov_b32 s25, s6
	v_pk_fma_f32 v[64:65], v[2:3], s[4:5], v[44:45] neg_lo:[1,0,0] neg_hi:[1,0,0]
	v_pk_fma_f32 v[68:69], v[2:3], s[4:5], v[44:45]
	v_pk_mul_f32 v[90:91], v[46:47], s[28:29]
	v_mov_b32_e32 v65, v69
	v_pk_add_f32 v[64:65], v[64:65], v[0:1]
	v_pk_fma_f32 v[92:93], v[12:13], s[16:17], v[90:91] neg_lo:[1,0,0] neg_hi:[1,0,0]
	v_pk_add_f32 v[64:65], v[64:65], v[72:73]
	v_pk_mul_f32 v[72:73], v[34:35], s[6:7]
	v_pk_fma_f32 v[94:95], v[12:13], s[16:17], v[90:91]
	v_pk_fma_f32 v[76:77], v[10:11], s[24:25], v[72:73] neg_lo:[1,0,0] neg_hi:[1,0,0]
	v_pk_fma_f32 v[78:79], v[10:11], s[24:25], v[72:73]
	v_mov_b32_e32 v93, v95
	v_mov_b32_e32 v77, v79
	v_pk_add_f32 v[64:65], v[64:65], v[76:77]
	v_pk_mul_f32 v[76:77], v[36:37], s[12:13]
	v_pk_mul_f32 v[46:47], v[46:47], s[30:31]
	v_pk_fma_f32 v[80:81], v[8:9], s[0:1], v[76:77] neg_lo:[1,0,0] neg_hi:[1,0,0]
	v_pk_fma_f32 v[82:83], v[8:9], s[0:1], v[76:77]
	v_pk_fma_f32 v[110:111], v[12:13], s[18:19], v[46:47] neg_lo:[1,0,0] neg_hi:[1,0,0]
	v_mov_b32_e32 v81, v83
	v_pk_add_f32 v[64:65], v[64:65], v[80:81]
	v_pk_mul_f32 v[80:81], v[40:41], s[22:23]
	v_pk_fma_f32 v[112:113], v[12:13], s[18:19], v[46:47]
	v_pk_fma_f32 v[84:85], v[6:7], s[8:9], v[80:81] neg_lo:[1,0,0] neg_hi:[1,0,0]
	v_pk_fma_f32 v[86:87], v[6:7], s[8:9], v[80:81]
	v_mov_b32_e32 v111, v113
	v_mov_b32_e32 v85, v87
	v_pk_add_f32 v[64:65], v[64:65], v[84:85]
	global_store_dwordx2 v[4:5], v[64:65], off offset:3960
	v_pk_mul_f32 v[64:65], v[42:43], s[22:23]
	v_pk_mul_f32 v[42:43], v[42:43], s[26:27]
	v_pk_fma_f32 v[84:85], v[2:3], s[8:9], v[64:65] neg_lo:[1,0,0] neg_hi:[1,0,0]
	v_pk_fma_f32 v[88:89], v[2:3], s[8:9], v[64:65]
	v_pk_fma_f32 v[108:109], v[2:3], s[10:11], v[42:43]
	v_mov_b32_e32 v85, v89
	v_pk_add_f32 v[84:85], v[84:85], v[0:1]
	v_pk_fma_f32 v[46:47], v[12:13], s[18:19], v[46:47] neg_lo:[0,0,1] neg_hi:[0,0,1]
	v_pk_add_f32 v[84:85], v[84:85], v[92:93]
	v_pk_mul_f32 v[92:93], v[34:35], s[12:13]
	s_movk_i32 s12, 0x1000
	v_pk_fma_f32 v[96:97], v[10:11], s[0:1], v[92:93] neg_lo:[1,0,0] neg_hi:[1,0,0]
	v_pk_fma_f32 v[98:99], v[10:11], s[0:1], v[92:93]
	v_pk_mul_f32 v[34:35], v[34:35], s[22:23]
	v_mov_b32_e32 v97, v99
	v_pk_add_f32 v[84:85], v[84:85], v[96:97]
	v_pk_mul_f32 v[96:97], v[36:37], s[26:27]
	v_pk_fma_f32 v[114:115], v[10:11], s[8:9], v[34:35]
	v_pk_fma_f32 v[100:101], v[8:9], s[10:11], v[96:97] neg_lo:[1,0,0] neg_hi:[1,0,0]
	v_pk_fma_f32 v[102:103], v[8:9], s[10:11], v[96:97]
	v_pk_mul_f32 v[36:37], v[36:37], s[6:7]
	v_mov_b32_e32 v101, v103
	v_pk_add_f32 v[84:85], v[84:85], v[100:101]
	v_pk_mul_f32 v[100:101], v[40:41], s[6:7]
	v_pk_fma_f32 v[116:117], v[8:9], s[24:25], v[36:37]
	v_pk_fma_f32 v[104:105], v[6:7], s[24:25], v[100:101] neg_lo:[1,0,0] neg_hi:[1,0,0]
	v_pk_fma_f32 v[106:107], v[6:7], s[24:25], v[100:101]
	v_mov_b32_e32 v113, v47
	v_mov_b32_e32 v105, v107
	v_pk_add_f32 v[84:85], v[84:85], v[104:105]
	v_add_co_u32_e32 v104, vcc, s12, v4
	v_pk_mul_f32 v[40:41], v[40:41], s[20:21]
	s_nop 0
	v_addc_co_u32_e32 v105, vcc, 0, v5, vcc
	global_store_dwordx2 v[104:105], v[84:85], off offset:1184
	v_pk_fma_f32 v[84:85], v[2:3], s[10:11], v[42:43] neg_lo:[1,0,0] neg_hi:[1,0,0]
	v_pk_fma_f32 v[42:43], v[2:3], s[10:11], v[42:43] neg_lo:[0,0,1] neg_hi:[0,0,1]
	v_mov_b32_e32 v85, v109
	v_pk_add_f32 v[84:85], v[84:85], v[0:1]
	v_mov_b32_e32 v109, v43
	v_pk_add_f32 v[84:85], v[84:85], v[110:111]
	v_pk_fma_f32 v[110:111], v[10:11], s[8:9], v[34:35] neg_lo:[1,0,0] neg_hi:[1,0,0]
	v_pk_add_f32 v[42:43], v[108:109], v[0:1]
	v_mov_b32_e32 v111, v115
	v_pk_add_f32 v[84:85], v[84:85], v[110:111]
	v_pk_fma_f32 v[110:111], v[8:9], s[24:25], v[36:37] neg_lo:[1,0,0] neg_hi:[1,0,0]
	v_pk_fma_f32 v[34:35], v[10:11], s[8:9], v[34:35] neg_lo:[0,0,1] neg_hi:[0,0,1]
	v_mov_b32_e32 v111, v117
	v_pk_add_f32 v[42:43], v[42:43], v[112:113]
	v_mov_b32_e32 v115, v35
	v_pk_fma_f32 v[36:37], v[8:9], s[24:25], v[36:37] neg_lo:[0,0,1] neg_hi:[0,0,1]
	v_pk_add_f32 v[84:85], v[84:85], v[110:111]
	v_pk_fma_f32 v[110:111], v[6:7], s[4:5], v[40:41] neg_lo:[1,0,0] neg_hi:[1,0,0]
	v_pk_fma_f32 v[118:119], v[6:7], s[4:5], v[40:41]
	v_pk_add_f32 v[34:35], v[42:43], v[114:115]
	v_mov_b32_e32 v117, v37
	v_pk_fma_f32 v[36:37], v[6:7], s[4:5], v[40:41] neg_lo:[0,0,1] neg_hi:[0,0,1]
	v_mov_b32_e32 v111, v119
	v_pk_add_f32 v[34:35], v[34:35], v[116:117]
	v_mov_b32_e32 v119, v37
	v_pk_add_f32 v[34:35], v[34:35], v[118:119]
	global_store_dwordx2 v[104:105], v[34:35], off offset:3824
	v_pk_fma_f32 v[34:35], v[2:3], s[8:9], v[64:65] neg_lo:[0,0,1] neg_hi:[0,0,1]
	v_pk_fma_f32 v[36:37], v[12:13], s[16:17], v[90:91] neg_lo:[0,0,1] neg_hi:[0,0,1]
	v_mov_b32_e32 v89, v35
	v_pk_add_f32 v[34:35], v[88:89], v[0:1]
	v_mov_b32_e32 v95, v37
	v_pk_fma_f32 v[36:37], v[10:11], s[0:1], v[92:93] neg_lo:[0,0,1] neg_hi:[0,0,1]
	v_pk_add_f32 v[34:35], v[34:35], v[94:95]
	v_mov_b32_e32 v99, v37
	v_pk_fma_f32 v[36:37], v[8:9], s[10:11], v[96:97] neg_lo:[0,0,1] neg_hi:[0,0,1]
	;; [unrolled: 3-line block ×3, first 2 shown]
	s_movk_i32 s6, 0x2000
	v_pk_add_f32 v[34:35], v[34:35], v[102:103]
	v_mov_b32_e32 v107, v37
	v_add_co_u32_e32 v36, vcc, s6, v4
	v_pk_add_f32 v[34:35], v[34:35], v[106:107]
	s_nop 0
	v_addc_co_u32_e32 v37, vcc, 0, v5, vcc
	global_store_dwordx2 v[36:37], v[34:35], off offset:1048
	v_pk_fma_f32 v[34:35], v[2:3], s[4:5], v[44:45] neg_lo:[0,0,1] neg_hi:[0,0,1]
	v_pk_fma_f32 v[40:41], v[12:13], s[14:15], v[70:71] neg_lo:[0,0,1] neg_hi:[0,0,1]
	v_mov_b32_e32 v69, v35
	v_pk_add_f32 v[34:35], v[68:69], v[0:1]
	v_mov_b32_e32 v75, v41
	v_pk_fma_f32 v[40:41], v[10:11], s[24:25], v[72:73] neg_lo:[0,0,1] neg_hi:[0,0,1]
	v_pk_add_f32 v[34:35], v[34:35], v[74:75]
	v_mov_b32_e32 v79, v41
	v_pk_fma_f32 v[40:41], v[8:9], s[0:1], v[76:77] neg_lo:[0,0,1] neg_hi:[0,0,1]
	;; [unrolled: 3-line block ×3, first 2 shown]
	v_pk_add_f32 v[34:35], v[34:35], v[82:83]
	v_mov_b32_e32 v87, v41
	v_pk_add_f32 v[34:35], v[34:35], v[86:87]
	global_store_dwordx2 v[36:37], v[34:35], off offset:2368
	v_pk_fma_f32 v[34:35], v[2:3], s[2:3], v[38:39] neg_lo:[0,0,1] neg_hi:[0,0,1]
	v_pk_fma_f32 v[2:3], v[2:3], s[0:1], v[14:15] neg_lo:[0,0,1] neg_hi:[0,0,1]
	v_mov_b32_e32 v49, v35
	v_pk_fma_f32 v[38:39], v[12:13], s[8:9], v[50:51] neg_lo:[0,0,1] neg_hi:[0,0,1]
	v_mov_b32_e32 v17, v3
	v_pk_fma_f32 v[2:3], v[12:13], s[2:3], v[18:19] neg_lo:[0,0,1] neg_hi:[0,0,1]
	v_pk_add_f32 v[34:35], v[48:49], v[0:1]
	v_mov_b32_e32 v55, v39
	v_pk_fma_f32 v[38:39], v[10:11], s[14:15], v[52:53] neg_lo:[0,0,1] neg_hi:[0,0,1]
	v_pk_add_f32 v[0:1], v[16:17], v[0:1]
	v_mov_b32_e32 v21, v3
	v_pk_fma_f32 v[2:3], v[10:11], s[4:5], v[22:23] neg_lo:[0,0,1] neg_hi:[0,0,1]
	v_pk_add_f32 v[34:35], v[34:35], v[54:55]
	v_mov_b32_e32 v59, v39
	v_pk_fma_f32 v[38:39], v[8:9], s[16:17], v[56:57] neg_lo:[0,0,1] neg_hi:[0,0,1]
	v_pk_add_f32 v[0:1], v[0:1], v[20:21]
	v_mov_b32_e32 v25, v3
	v_pk_fma_f32 v[2:3], v[8:9], s[8:9], v[26:27] neg_lo:[0,0,1] neg_hi:[0,0,1]
	v_pk_add_f32 v[34:35], v[34:35], v[58:59]
	v_mov_b32_e32 v63, v39
	v_pk_fma_f32 v[38:39], v[6:7], s[18:19], v[60:61] neg_lo:[0,0,1] neg_hi:[0,0,1]
	v_pk_add_f32 v[0:1], v[0:1], v[24:25]
	v_mov_b32_e32 v29, v3
	v_pk_fma_f32 v[2:3], v[6:7], s[10:11], v[30:31] neg_lo:[0,0,1] neg_hi:[0,0,1]
	v_pk_add_f32 v[34:35], v[34:35], v[62:63]
	v_mov_b32_e32 v67, v39
	v_pk_add_f32 v[0:1], v[0:1], v[28:29]
	v_mov_b32_e32 v33, v3
	v_add_co_u32_e32 v2, vcc, 0x3000, v4
	v_pk_add_f32 v[84:85], v[84:85], v[110:111]
	v_pk_add_f32 v[34:35], v[34:35], v[66:67]
	;; [unrolled: 1-line block ×3, first 2 shown]
	v_addc_co_u32_e32 v3, vcc, 0, v5, vcc
	global_store_dwordx2 v[104:105], v[84:85], off offset:2504
	global_store_dwordx2 v[36:37], v[34:35], off offset:3688
	;; [unrolled: 1-line block ×3, first 2 shown]
.LBB0_21:
	s_endpgm
	.section	.rodata,"a",@progbits
	.p2align	6, 0x0
	.amdhsa_kernel fft_rtc_fwd_len1815_factors_11_3_5_11_wgs_165_tpt_165_sp_ip_CI_unitstride_sbrr_dirReg
		.amdhsa_group_segment_fixed_size 0
		.amdhsa_private_segment_fixed_size 0
		.amdhsa_kernarg_size 88
		.amdhsa_user_sgpr_count 2
		.amdhsa_user_sgpr_dispatch_ptr 0
		.amdhsa_user_sgpr_queue_ptr 0
		.amdhsa_user_sgpr_kernarg_segment_ptr 1
		.amdhsa_user_sgpr_dispatch_id 0
		.amdhsa_user_sgpr_kernarg_preload_length 0
		.amdhsa_user_sgpr_kernarg_preload_offset 0
		.amdhsa_user_sgpr_private_segment_size 0
		.amdhsa_uses_dynamic_stack 0
		.amdhsa_enable_private_segment 0
		.amdhsa_system_sgpr_workgroup_id_x 1
		.amdhsa_system_sgpr_workgroup_id_y 0
		.amdhsa_system_sgpr_workgroup_id_z 0
		.amdhsa_system_sgpr_workgroup_info 0
		.amdhsa_system_vgpr_workitem_id 0
		.amdhsa_next_free_vgpr 130
		.amdhsa_next_free_sgpr 38
		.amdhsa_accum_offset 132
		.amdhsa_reserve_vcc 1
		.amdhsa_float_round_mode_32 0
		.amdhsa_float_round_mode_16_64 0
		.amdhsa_float_denorm_mode_32 3
		.amdhsa_float_denorm_mode_16_64 3
		.amdhsa_dx10_clamp 1
		.amdhsa_ieee_mode 1
		.amdhsa_fp16_overflow 0
		.amdhsa_tg_split 0
		.amdhsa_exception_fp_ieee_invalid_op 0
		.amdhsa_exception_fp_denorm_src 0
		.amdhsa_exception_fp_ieee_div_zero 0
		.amdhsa_exception_fp_ieee_overflow 0
		.amdhsa_exception_fp_ieee_underflow 0
		.amdhsa_exception_fp_ieee_inexact 0
		.amdhsa_exception_int_div_zero 0
	.end_amdhsa_kernel
	.text
.Lfunc_end0:
	.size	fft_rtc_fwd_len1815_factors_11_3_5_11_wgs_165_tpt_165_sp_ip_CI_unitstride_sbrr_dirReg, .Lfunc_end0-fft_rtc_fwd_len1815_factors_11_3_5_11_wgs_165_tpt_165_sp_ip_CI_unitstride_sbrr_dirReg
                                        ; -- End function
	.section	.AMDGPU.csdata,"",@progbits
; Kernel info:
; codeLenInByte = 8764
; NumSgprs: 44
; NumVgprs: 130
; NumAgprs: 0
; TotalNumVgprs: 130
; ScratchSize: 0
; MemoryBound: 0
; FloatMode: 240
; IeeeMode: 1
; LDSByteSize: 0 bytes/workgroup (compile time only)
; SGPRBlocks: 5
; VGPRBlocks: 16
; NumSGPRsForWavesPerEU: 44
; NumVGPRsForWavesPerEU: 130
; AccumOffset: 132
; Occupancy: 3
; WaveLimiterHint : 1
; COMPUTE_PGM_RSRC2:SCRATCH_EN: 0
; COMPUTE_PGM_RSRC2:USER_SGPR: 2
; COMPUTE_PGM_RSRC2:TRAP_HANDLER: 0
; COMPUTE_PGM_RSRC2:TGID_X_EN: 1
; COMPUTE_PGM_RSRC2:TGID_Y_EN: 0
; COMPUTE_PGM_RSRC2:TGID_Z_EN: 0
; COMPUTE_PGM_RSRC2:TIDIG_COMP_CNT: 0
; COMPUTE_PGM_RSRC3_GFX90A:ACCUM_OFFSET: 32
; COMPUTE_PGM_RSRC3_GFX90A:TG_SPLIT: 0
	.text
	.p2alignl 6, 3212836864
	.fill 256, 4, 3212836864
	.type	__hip_cuid_df0ca25c5f550bf6,@object ; @__hip_cuid_df0ca25c5f550bf6
	.section	.bss,"aw",@nobits
	.globl	__hip_cuid_df0ca25c5f550bf6
__hip_cuid_df0ca25c5f550bf6:
	.byte	0                               ; 0x0
	.size	__hip_cuid_df0ca25c5f550bf6, 1

	.ident	"AMD clang version 19.0.0git (https://github.com/RadeonOpenCompute/llvm-project roc-6.4.0 25133 c7fe45cf4b819c5991fe208aaa96edf142730f1d)"
	.section	".note.GNU-stack","",@progbits
	.addrsig
	.addrsig_sym __hip_cuid_df0ca25c5f550bf6
	.amdgpu_metadata
---
amdhsa.kernels:
  - .agpr_count:     0
    .args:
      - .actual_access:  read_only
        .address_space:  global
        .offset:         0
        .size:           8
        .value_kind:     global_buffer
      - .offset:         8
        .size:           8
        .value_kind:     by_value
      - .actual_access:  read_only
        .address_space:  global
        .offset:         16
        .size:           8
        .value_kind:     global_buffer
      - .actual_access:  read_only
        .address_space:  global
        .offset:         24
        .size:           8
        .value_kind:     global_buffer
      - .offset:         32
        .size:           8
        .value_kind:     by_value
      - .actual_access:  read_only
        .address_space:  global
        .offset:         40
        .size:           8
        .value_kind:     global_buffer
      - .actual_access:  read_only
        .address_space:  global
        .offset:         48
        .size:           8
        .value_kind:     global_buffer
      - .offset:         56
        .size:           4
        .value_kind:     by_value
      - .actual_access:  read_only
        .address_space:  global
        .offset:         64
        .size:           8
        .value_kind:     global_buffer
      - .actual_access:  read_only
        .address_space:  global
        .offset:         72
        .size:           8
        .value_kind:     global_buffer
      - .address_space:  global
        .offset:         80
        .size:           8
        .value_kind:     global_buffer
    .group_segment_fixed_size: 0
    .kernarg_segment_align: 8
    .kernarg_segment_size: 88
    .language:       OpenCL C
    .language_version:
      - 2
      - 0
    .max_flat_workgroup_size: 165
    .name:           fft_rtc_fwd_len1815_factors_11_3_5_11_wgs_165_tpt_165_sp_ip_CI_unitstride_sbrr_dirReg
    .private_segment_fixed_size: 0
    .sgpr_count:     44
    .sgpr_spill_count: 0
    .symbol:         fft_rtc_fwd_len1815_factors_11_3_5_11_wgs_165_tpt_165_sp_ip_CI_unitstride_sbrr_dirReg.kd
    .uniform_work_group_size: 1
    .uses_dynamic_stack: false
    .vgpr_count:     130
    .vgpr_spill_count: 0
    .wavefront_size: 64
amdhsa.target:   amdgcn-amd-amdhsa--gfx950
amdhsa.version:
  - 1
  - 2
...

	.end_amdgpu_metadata
